;; amdgpu-corpus repo=ROCm/rocFFT kind=compiled arch=gfx950 opt=O3
	.text
	.amdgcn_target "amdgcn-amd-amdhsa--gfx950"
	.amdhsa_code_object_version 6
	.protected	fft_rtc_back_len2040_factors_17_4_3_10_wgs_170_tpt_170_halfLds_sp_ip_CI_unitstride_sbrr_C2R_dirReg ; -- Begin function fft_rtc_back_len2040_factors_17_4_3_10_wgs_170_tpt_170_halfLds_sp_ip_CI_unitstride_sbrr_C2R_dirReg
	.globl	fft_rtc_back_len2040_factors_17_4_3_10_wgs_170_tpt_170_halfLds_sp_ip_CI_unitstride_sbrr_C2R_dirReg
	.p2align	8
	.type	fft_rtc_back_len2040_factors_17_4_3_10_wgs_170_tpt_170_halfLds_sp_ip_CI_unitstride_sbrr_C2R_dirReg,@function
fft_rtc_back_len2040_factors_17_4_3_10_wgs_170_tpt_170_halfLds_sp_ip_CI_unitstride_sbrr_C2R_dirReg: ; @fft_rtc_back_len2040_factors_17_4_3_10_wgs_170_tpt_170_halfLds_sp_ip_CI_unitstride_sbrr_C2R_dirReg
; %bb.0:
	s_load_dwordx2 s[8:9], s[0:1], 0x50
	s_load_dwordx4 s[4:7], s[0:1], 0x0
	s_load_dwordx2 s[10:11], s[0:1], 0x18
	v_mul_u32_u24_e32 v1, 0x182, v0
	v_add_u32_sdwa v6, s2, v1 dst_sel:DWORD dst_unused:UNUSED_PAD src0_sel:DWORD src1_sel:WORD_1
	v_mov_b32_e32 v4, 0
	s_waitcnt lgkmcnt(0)
	v_cmp_lt_u64_e64 s[2:3], s[6:7], 2
	v_mov_b32_e32 v7, v4
	s_and_b64 vcc, exec, s[2:3]
	v_mov_b64_e32 v[2:3], 0
	s_cbranch_vccnz .LBB0_8
; %bb.1:
	s_load_dwordx2 s[2:3], s[0:1], 0x10
	s_add_u32 s12, s10, 8
	s_addc_u32 s13, s11, 0
	s_mov_b64 s[14:15], 1
	v_mov_b64_e32 v[2:3], 0
	s_waitcnt lgkmcnt(0)
	s_add_u32 s16, s2, 8
	s_addc_u32 s17, s3, 0
.LBB0_2:                                ; =>This Inner Loop Header: Depth=1
	s_load_dwordx2 s[18:19], s[16:17], 0x0
                                        ; implicit-def: $vgpr8_vgpr9
	s_waitcnt lgkmcnt(0)
	v_or_b32_e32 v5, s19, v7
	v_cmp_ne_u64_e32 vcc, 0, v[4:5]
	s_and_saveexec_b64 s[2:3], vcc
	s_xor_b64 s[20:21], exec, s[2:3]
	s_cbranch_execz .LBB0_4
; %bb.3:                                ;   in Loop: Header=BB0_2 Depth=1
	v_cvt_f32_u32_e32 v1, s18
	v_cvt_f32_u32_e32 v5, s19
	s_sub_u32 s2, 0, s18
	s_subb_u32 s3, 0, s19
	v_fmac_f32_e32 v1, 0x4f800000, v5
	v_rcp_f32_e32 v1, v1
	s_nop 0
	v_mul_f32_e32 v1, 0x5f7ffffc, v1
	v_mul_f32_e32 v5, 0x2f800000, v1
	v_trunc_f32_e32 v5, v5
	v_fmac_f32_e32 v1, 0xcf800000, v5
	v_cvt_u32_f32_e32 v5, v5
	v_cvt_u32_f32_e32 v1, v1
	v_mul_lo_u32 v8, s2, v5
	v_mul_hi_u32 v10, s2, v1
	v_mul_lo_u32 v9, s3, v1
	v_add_u32_e32 v10, v10, v8
	v_mul_lo_u32 v12, s2, v1
	v_add_u32_e32 v13, v10, v9
	v_mul_hi_u32 v8, v1, v12
	v_mul_hi_u32 v11, v1, v13
	v_mul_lo_u32 v10, v1, v13
	v_mov_b32_e32 v9, v4
	v_lshl_add_u64 v[8:9], v[8:9], 0, v[10:11]
	v_mul_hi_u32 v11, v5, v12
	v_mul_lo_u32 v12, v5, v12
	v_add_co_u32_e32 v8, vcc, v8, v12
	v_mul_hi_u32 v10, v5, v13
	s_nop 0
	v_addc_co_u32_e32 v8, vcc, v9, v11, vcc
	v_mov_b32_e32 v9, v4
	s_nop 0
	v_addc_co_u32_e32 v11, vcc, 0, v10, vcc
	v_mul_lo_u32 v10, v5, v13
	v_lshl_add_u64 v[8:9], v[8:9], 0, v[10:11]
	v_add_co_u32_e32 v1, vcc, v1, v8
	v_mul_lo_u32 v10, s2, v1
	s_nop 0
	v_addc_co_u32_e32 v5, vcc, v5, v9, vcc
	v_mul_lo_u32 v8, s2, v5
	v_mul_hi_u32 v9, s2, v1
	v_add_u32_e32 v8, v9, v8
	v_mul_lo_u32 v9, s3, v1
	v_add_u32_e32 v12, v8, v9
	v_mul_hi_u32 v14, v5, v10
	v_mul_lo_u32 v15, v5, v10
	v_mul_hi_u32 v9, v1, v12
	v_mul_lo_u32 v8, v1, v12
	v_mul_hi_u32 v10, v1, v10
	v_mov_b32_e32 v11, v4
	v_lshl_add_u64 v[8:9], v[10:11], 0, v[8:9]
	v_add_co_u32_e32 v8, vcc, v8, v15
	v_mul_hi_u32 v13, v5, v12
	s_nop 0
	v_addc_co_u32_e32 v8, vcc, v9, v14, vcc
	v_mul_lo_u32 v10, v5, v12
	s_nop 0
	v_addc_co_u32_e32 v11, vcc, 0, v13, vcc
	v_mov_b32_e32 v9, v4
	v_lshl_add_u64 v[8:9], v[8:9], 0, v[10:11]
	v_add_co_u32_e32 v1, vcc, v1, v8
	v_mul_hi_u32 v10, v6, v1
	s_nop 0
	v_addc_co_u32_e32 v5, vcc, v5, v9, vcc
	v_mad_u64_u32 v[8:9], s[2:3], v6, v5, 0
	v_mov_b32_e32 v11, v4
	v_lshl_add_u64 v[8:9], v[10:11], 0, v[8:9]
	v_mad_u64_u32 v[12:13], s[2:3], v7, v1, 0
	v_add_co_u32_e32 v1, vcc, v8, v12
	v_mad_u64_u32 v[10:11], s[2:3], v7, v5, 0
	s_nop 0
	v_addc_co_u32_e32 v8, vcc, v9, v13, vcc
	v_mov_b32_e32 v9, v4
	s_nop 0
	v_addc_co_u32_e32 v11, vcc, 0, v11, vcc
	v_lshl_add_u64 v[8:9], v[8:9], 0, v[10:11]
	v_mul_lo_u32 v1, s19, v8
	v_mul_lo_u32 v5, s18, v9
	v_mad_u64_u32 v[10:11], s[2:3], s18, v8, 0
	v_add3_u32 v1, v11, v5, v1
	v_sub_u32_e32 v5, v7, v1
	v_mov_b32_e32 v11, s19
	v_sub_co_u32_e32 v14, vcc, v6, v10
	v_lshl_add_u64 v[12:13], v[8:9], 0, 1
	s_nop 0
	v_subb_co_u32_e64 v5, s[2:3], v5, v11, vcc
	v_subrev_co_u32_e64 v10, s[2:3], s18, v14
	v_subb_co_u32_e32 v1, vcc, v7, v1, vcc
	s_nop 0
	v_subbrev_co_u32_e64 v5, s[2:3], 0, v5, s[2:3]
	v_cmp_le_u32_e64 s[2:3], s19, v5
	v_cmp_le_u32_e32 vcc, s19, v1
	s_nop 0
	v_cndmask_b32_e64 v11, 0, -1, s[2:3]
	v_cmp_le_u32_e64 s[2:3], s18, v10
	s_nop 1
	v_cndmask_b32_e64 v10, 0, -1, s[2:3]
	v_cmp_eq_u32_e64 s[2:3], s19, v5
	s_nop 1
	v_cndmask_b32_e64 v5, v11, v10, s[2:3]
	v_lshl_add_u64 v[10:11], v[8:9], 0, 2
	v_cmp_ne_u32_e64 s[2:3], 0, v5
	s_nop 1
	v_cndmask_b32_e64 v5, v13, v11, s[2:3]
	v_cndmask_b32_e64 v11, 0, -1, vcc
	v_cmp_le_u32_e32 vcc, s18, v14
	s_nop 1
	v_cndmask_b32_e64 v13, 0, -1, vcc
	v_cmp_eq_u32_e32 vcc, s19, v1
	s_nop 1
	v_cndmask_b32_e32 v1, v11, v13, vcc
	v_cmp_ne_u32_e32 vcc, 0, v1
	v_cndmask_b32_e64 v1, v12, v10, s[2:3]
	s_nop 0
	v_cndmask_b32_e32 v9, v9, v5, vcc
	v_cndmask_b32_e32 v8, v8, v1, vcc
.LBB0_4:                                ;   in Loop: Header=BB0_2 Depth=1
	s_andn2_saveexec_b64 s[2:3], s[20:21]
	s_cbranch_execz .LBB0_6
; %bb.5:                                ;   in Loop: Header=BB0_2 Depth=1
	v_cvt_f32_u32_e32 v1, s18
	s_sub_i32 s20, 0, s18
	v_rcp_iflag_f32_e32 v1, v1
	s_nop 0
	v_mul_f32_e32 v1, 0x4f7ffffe, v1
	v_cvt_u32_f32_e32 v1, v1
	v_mul_lo_u32 v5, s20, v1
	v_mul_hi_u32 v5, v1, v5
	v_add_u32_e32 v1, v1, v5
	v_mul_hi_u32 v1, v6, v1
	v_mul_lo_u32 v5, v1, s18
	v_sub_u32_e32 v5, v6, v5
	v_add_u32_e32 v8, 1, v1
	v_subrev_u32_e32 v9, s18, v5
	v_cmp_le_u32_e32 vcc, s18, v5
	s_nop 1
	v_cndmask_b32_e32 v5, v5, v9, vcc
	v_cndmask_b32_e32 v1, v1, v8, vcc
	v_add_u32_e32 v8, 1, v1
	v_cmp_le_u32_e32 vcc, s18, v5
	v_mov_b32_e32 v9, v4
	s_nop 0
	v_cndmask_b32_e32 v8, v1, v8, vcc
.LBB0_6:                                ;   in Loop: Header=BB0_2 Depth=1
	s_or_b64 exec, exec, s[2:3]
	v_mad_u64_u32 v[10:11], s[2:3], v8, s18, 0
	s_load_dwordx2 s[2:3], s[12:13], 0x0
	v_mul_lo_u32 v1, v9, s18
	v_mul_lo_u32 v5, v8, s19
	v_add3_u32 v1, v11, v5, v1
	v_sub_co_u32_e32 v5, vcc, v6, v10
	s_add_u32 s14, s14, 1
	s_nop 0
	v_subb_co_u32_e32 v1, vcc, v7, v1, vcc
	s_addc_u32 s15, s15, 0
	s_waitcnt lgkmcnt(0)
	v_mul_lo_u32 v1, s2, v1
	v_mul_lo_u32 v6, s3, v5
	v_mad_u64_u32 v[2:3], s[2:3], s2, v5, v[2:3]
	s_add_u32 s12, s12, 8
	v_add3_u32 v3, v6, v3, v1
	s_addc_u32 s13, s13, 0
	v_mov_b64_e32 v[6:7], s[6:7]
	s_add_u32 s16, s16, 8
	v_cmp_ge_u64_e32 vcc, s[14:15], v[6:7]
	s_addc_u32 s17, s17, 0
	s_cbranch_vccnz .LBB0_9
; %bb.7:                                ;   in Loop: Header=BB0_2 Depth=1
	v_mov_b64_e32 v[6:7], v[8:9]
	s_branch .LBB0_2
.LBB0_8:
	v_mov_b64_e32 v[8:9], v[6:7]
.LBB0_9:
	s_lshl_b64 s[2:3], s[6:7], 3
	s_add_u32 s2, s10, s2
	s_addc_u32 s3, s11, s3
	s_load_dwordx2 s[6:7], s[2:3], 0x0
	s_load_dwordx2 s[10:11], s[0:1], 0x20
	s_mov_b32 s2, 0x1818182
	s_waitcnt lgkmcnt(0)
	v_mul_lo_u32 v1, s6, v9
	v_mul_lo_u32 v4, s7, v8
	v_mad_u64_u32 v[2:3], s[0:1], s6, v8, v[2:3]
	v_add3_u32 v3, v4, v3, v1
	v_mul_hi_u32 v1, v0, s2
	v_mul_u32_u24_e32 v1, 0xaa, v1
	v_cmp_gt_u64_e64 s[0:1], s[10:11], v[8:9]
	v_sub_u32_e32 v36, v0, v1
	v_lshl_add_u64 v[38:39], v[2:3], 3, s[8:9]
	s_and_saveexec_b64 s[2:3], s[0:1]
	s_cbranch_execz .LBB0_13
; %bb.10:
	v_mov_b32_e32 v37, 0
	v_lshl_add_u64 v[0:1], v[36:37], 3, v[38:39]
	v_add_co_u32_e32 v10, vcc, 0x1000, v0
	global_load_dwordx2 v[2:3], v[0:1], off
	global_load_dwordx2 v[4:5], v[0:1], off offset:1360
	global_load_dwordx2 v[6:7], v[0:1], off offset:2720
	;; [unrolled: 1-line block ×3, first 2 shown]
	v_addc_co_u32_e32 v11, vcc, 0, v1, vcc
	v_add_co_u32_e32 v12, vcc, 0x2000, v0
	s_movk_i32 s6, 0xa9
	s_nop 0
	v_addc_co_u32_e32 v13, vcc, 0, v1, vcc
	v_add_co_u32_e32 v0, vcc, 0x3000, v0
	global_load_dwordx2 v[14:15], v[10:11], off offset:1344
	global_load_dwordx2 v[16:17], v[10:11], off offset:2704
	;; [unrolled: 1-line block ×4, first 2 shown]
	v_addc_co_u32_e32 v1, vcc, 0, v1, vcc
	global_load_dwordx2 v[10:11], v[12:13], off offset:2688
	global_load_dwordx2 v[22:23], v[12:13], off offset:4048
	;; [unrolled: 1-line block ×4, first 2 shown]
	v_lshl_add_u32 v0, v36, 3, 0
	v_cmp_eq_u32_e32 vcc, s6, v36
	v_add_u32_e32 v1, 0x800, v0
	v_add_u32_e32 v12, 0x1400, v0
	;; [unrolled: 1-line block ×5, first 2 shown]
	s_waitcnt vmcnt(10)
	ds_write2_b64 v0, v[2:3], v[4:5] offset1:170
	s_waitcnt vmcnt(8)
	ds_write2_b64 v1, v[6:7], v[8:9] offset0:84 offset1:254
	s_waitcnt vmcnt(6)
	ds_write2_b64 v12, v[14:15], v[16:17] offset0:40 offset1:210
	;; [unrolled: 2-line block ×5, first 2 shown]
	s_and_saveexec_b64 s[6:7], vcc
	s_cbranch_execz .LBB0_12
; %bb.11:
	v_add_co_u32_e32 v0, vcc, 0x3000, v38
	v_mov_b32_e32 v36, 0xa9
	s_nop 0
	v_addc_co_u32_e32 v1, vcc, 0, v39, vcc
	global_load_dwordx2 v[0:1], v[0:1], off offset:4032
	s_waitcnt vmcnt(0)
	ds_write_b64 v37, v[0:1] offset:16320
.LBB0_12:
	s_or_b64 exec, exec, s[6:7]
.LBB0_13:
	s_or_b64 exec, exec, s[2:3]
	v_lshlrev_b32_e32 v0, 3, v36
	v_add_u32_e32 v46, 0, v0
	s_waitcnt lgkmcnt(0)
	s_barrier
	v_sub_u32_e32 v4, 0, v0
	ds_read_b32 v1, v46
	ds_read_b32 v2, v4 offset:16320
	s_add_u32 s2, s4, 0x3f38
	s_addc_u32 s3, s5, 0
	v_cmp_ne_u32_e32 vcc, 0, v36
	s_waitcnt lgkmcnt(0)
	v_add_f32_e32 v0, v2, v1
	v_sub_f32_e32 v1, v1, v2
                                        ; implicit-def: $vgpr2_vgpr3
	s_and_saveexec_b64 s[6:7], vcc
	s_xor_b64 s[6:7], exec, s[6:7]
	s_cbranch_execz .LBB0_15
; %bb.14:
	v_mov_b32_e32 v37, 0
	v_lshl_add_u64 v[2:3], v[36:37], 3, s[2:3]
	global_load_dwordx2 v[6:7], v[2:3], off
	ds_read_b32 v5, v4 offset:16324
	ds_read_b32 v11, v46 offset:4
	v_mov_b32_e32 v8, v1
	v_mov_b32_e32 v10, v0
	;; [unrolled: 1-line block ×3, first 2 shown]
	v_mov_b64_e32 v[2:3], v[36:37]
	s_waitcnt lgkmcnt(0)
	v_add_f32_e32 v9, v5, v11
	v_sub_f32_e32 v11, v11, v5
	v_mov_b32_e32 v12, v9
	s_waitcnt vmcnt(0)
	v_pk_mul_f32 v[14:15], v[8:9], v[6:7] op_sel:[0,1]
	v_pk_fma_f32 v[8:9], v[8:9], v[6:7], v[10:11] op_sel:[0,1,0]
	v_mov_b32_e32 v1, v15
	v_mov_b32_e32 v15, v11
	v_pk_fma_f32 v[16:17], v[6:7], v[12:13], v[8:9] neg_lo:[1,0,0] neg_hi:[1,0,0]
	v_pk_fma_f32 v[8:9], v[6:7], v[12:13], v[8:9] op_sel_hi:[0,1,1]
	v_pk_add_f32 v[0:1], v[0:1], v[14:15] neg_lo:[0,1] neg_hi:[0,1]
	v_mov_b32_e32 v17, v9
	v_pk_fma_f32 v[0:1], v[6:7], v[12:13], v[0:1] op_sel_hi:[0,1,1]
	ds_write_b64 v4, v[0:1] offset:16320
	v_mov_b64_e32 v[0:1], v[16:17]
.LBB0_15:
	s_andn2_saveexec_b64 s[6:7], s[6:7]
	s_cbranch_execz .LBB0_17
; %bb.16:
	v_mov_b32_e32 v5, 0
	ds_read_b64 v[2:3], v5 offset:8160
	s_mov_b32 s8, 2.0
	s_mov_b32 s9, -2.0
	s_waitcnt lgkmcnt(0)
	v_pk_mul_f32 v[2:3], v[2:3], s[8:9]
	ds_write_b64 v5, v[2:3] offset:8160
	v_mov_b64_e32 v[2:3], 0
.LBB0_17:
	s_or_b64 exec, exec, s[6:7]
	v_add_u32_e32 v14, 0xaa, v36
	v_mov_b32_e32 v15, 0
	v_lshl_add_u64 v[6:7], v[14:15], 3, s[2:3]
	global_load_dwordx2 v[6:7], v[6:7], off
	v_add_u32_e32 v44, 0x154, v36
	v_mov_b32_e32 v45, v15
	v_lshl_add_u64 v[8:9], v[44:45], 3, s[2:3]
	global_load_dwordx2 v[8:9], v[8:9], off
	v_lshl_add_u64 v[2:3], v[2:3], 3, s[2:3]
	global_load_dwordx2 v[10:11], v[2:3], off offset:4080
	s_movk_i32 s2, 0x1000
	v_add_co_u32_e32 v2, vcc, s2, v2
	ds_write_b64 v46, v[0:1]
	s_nop 0
	v_addc_co_u32_e32 v3, vcc, 0, v3, vcc
	global_load_dwordx2 v[12:13], v[2:3], off offset:1344
	v_accvgpr_write_b32 a0, v14
	v_lshl_add_u32 v37, v14, 3, 0
	ds_read_b64 v[0:1], v4 offset:14960
	ds_read_b64 v[14:15], v37
	global_load_dwordx2 v[2:3], v[2:3], off offset:2704
	v_lshl_add_u32 v45, v44, 3, 0
	s_mov_b32 s2, 0x3f6eb680
	s_mov_b32 s3, 0xbeb8f4ab
	s_waitcnt lgkmcnt(0)
	v_pk_add_f32 v[16:17], v[14:15], v[0:1]
	v_pk_add_f32 v[0:1], v[14:15], v[0:1] neg_lo:[0,1] neg_hi:[0,1]
	v_mov_b32_e32 v14, v17
	v_mov_b32_e32 v15, v0
	;; [unrolled: 1-line block ×3, first 2 shown]
	s_mov_b32 s22, s3
	s_mov_b32 s23, s2
	s_mov_b32 s6, 0x3f3d2fb0
	s_mov_b32 s7, 0xbf2c7751
	s_mov_b32 s18, s7
	s_mov_b32 s19, s6
	s_mov_b32 s8, 0x3ee437d1
	s_mov_b32 s34, 0xbf65296c
	s_mov_b32 s35, s8
	s_mov_b32 s10, 0x3dbcf732
	s_mov_b32 s9, s34
	s_mov_b32 s11, 0xbf7ee86f
	s_mov_b32 s26, s11
	s_mov_b32 s27, s10
	v_add_u32_e32 v47, 0x2400, v46
	s_mov_b32 s12, 0xbe8c1d8e
	s_mov_b32 s13, 0xbf763a35
	;; [unrolled: 1-line block ×28, first 2 shown]
	s_waitcnt vmcnt(4)
	v_pk_mul_f32 v[18:19], v[14:15], v[6:7] op_sel:[0,1]
	s_nop 0
	v_pk_add_f32 v[20:21], v[16:17], v[18:19] op_sel:[0,1] op_sel_hi:[1,0]
	v_mov_b32_e32 v17, v18
	v_mov_b32_e32 v0, v19
	v_pk_fma_f32 v[18:19], v[6:7], v[14:15], v[20:21] neg_lo:[1,0,0] neg_hi:[1,0,0]
	v_pk_fma_f32 v[20:21], v[6:7], v[14:15], v[20:21] op_sel_hi:[0,1,1]
	v_pk_add_f32 v[0:1], v[16:17], v[0:1] neg_lo:[0,1] neg_hi:[0,1]
	v_mov_b32_e32 v19, v21
	v_pk_fma_f32 v[0:1], v[6:7], v[14:15], v[0:1] op_sel_hi:[0,1,1]
	ds_write_b64 v37, v[18:19]
	ds_write_b64 v4, v[0:1] offset:14960
	ds_read_b64 v[0:1], v4 offset:13600
	ds_read_b64 v[6:7], v45
	s_waitcnt lgkmcnt(0)
	v_pk_add_f32 v[14:15], v[6:7], v[0:1]
	v_pk_add_f32 v[0:1], v[6:7], v[0:1] neg_lo:[0,1] neg_hi:[0,1]
	v_mov_b32_e32 v6, v15
	v_mov_b32_e32 v7, v0
	;; [unrolled: 1-line block ×3, first 2 shown]
	s_waitcnt vmcnt(3)
	v_pk_mul_f32 v[16:17], v[6:7], v[8:9] op_sel:[0,1]
	s_nop 0
	v_pk_add_f32 v[18:19], v[14:15], v[16:17] op_sel:[0,1] op_sel_hi:[1,0]
	v_mov_b32_e32 v15, v16
	v_mov_b32_e32 v0, v17
	v_pk_fma_f32 v[16:17], v[8:9], v[6:7], v[18:19] neg_lo:[1,0,0] neg_hi:[1,0,0]
	v_pk_fma_f32 v[18:19], v[8:9], v[6:7], v[18:19] op_sel_hi:[0,1,1]
	v_pk_add_f32 v[0:1], v[14:15], v[0:1] neg_lo:[0,1] neg_hi:[0,1]
	v_mov_b32_e32 v17, v19
	v_pk_fma_f32 v[0:1], v[8:9], v[6:7], v[0:1] op_sel_hi:[0,1,1]
	ds_write_b64 v45, v[16:17]
	ds_write_b64 v4, v[0:1] offset:13600
	ds_read_b64 v[0:1], v4 offset:12240
	ds_read_b64 v[6:7], v46 offset:4080
	s_waitcnt lgkmcnt(0)
	v_pk_add_f32 v[8:9], v[6:7], v[0:1]
	v_pk_add_f32 v[0:1], v[6:7], v[0:1] neg_lo:[0,1] neg_hi:[0,1]
	v_mov_b32_e32 v6, v9
	v_mov_b32_e32 v7, v0
	;; [unrolled: 1-line block ×3, first 2 shown]
	s_waitcnt vmcnt(2)
	v_pk_mul_f32 v[14:15], v[6:7], v[10:11] op_sel:[0,1]
	s_nop 0
	v_pk_add_f32 v[16:17], v[8:9], v[14:15] op_sel:[0,1] op_sel_hi:[1,0]
	v_mov_b32_e32 v9, v14
	v_mov_b32_e32 v0, v15
	v_pk_fma_f32 v[14:15], v[10:11], v[6:7], v[16:17] neg_lo:[1,0,0] neg_hi:[1,0,0]
	v_pk_fma_f32 v[16:17], v[10:11], v[6:7], v[16:17] op_sel_hi:[0,1,1]
	v_pk_add_f32 v[0:1], v[8:9], v[0:1] neg_lo:[0,1] neg_hi:[0,1]
	v_mov_b32_e32 v15, v17
	v_pk_fma_f32 v[0:1], v[10:11], v[6:7], v[0:1] op_sel_hi:[0,1,1]
	ds_write_b64 v46, v[14:15] offset:4080
	ds_write_b64 v4, v[0:1] offset:12240
	ds_read_b64 v[0:1], v4 offset:10880
	ds_read_b64 v[6:7], v46 offset:5440
	v_add_u32_e32 v16, 0x3400, v46
	v_add_u32_e32 v17, 0x400, v46
	s_waitcnt lgkmcnt(0)
	v_pk_add_f32 v[8:9], v[6:7], v[0:1]
	v_pk_add_f32 v[0:1], v[6:7], v[0:1] neg_lo:[0,1] neg_hi:[0,1]
	v_mov_b32_e32 v6, v9
	v_mov_b32_e32 v7, v0
	v_mov_b32_e32 v9, v1
	s_waitcnt vmcnt(1)
	v_pk_mul_f32 v[10:11], v[6:7], v[12:13] op_sel:[0,1]
	s_nop 0
	v_pk_add_f32 v[14:15], v[8:9], v[10:11] op_sel:[0,1] op_sel_hi:[1,0]
	v_mov_b32_e32 v9, v10
	v_mov_b32_e32 v0, v11
	v_pk_fma_f32 v[10:11], v[12:13], v[6:7], v[14:15] neg_lo:[1,0,0] neg_hi:[1,0,0]
	v_pk_fma_f32 v[14:15], v[12:13], v[6:7], v[14:15] op_sel_hi:[0,1,1]
	v_pk_add_f32 v[0:1], v[8:9], v[0:1] neg_lo:[0,1] neg_hi:[0,1]
	v_mov_b32_e32 v11, v15
	v_pk_fma_f32 v[0:1], v[12:13], v[6:7], v[0:1] op_sel_hi:[0,1,1]
	ds_write_b64 v46, v[10:11] offset:5440
	ds_write_b64 v4, v[0:1] offset:10880
	ds_read_b64 v[0:1], v4 offset:9520
	ds_read_b64 v[6:7], v46 offset:6800
	s_waitcnt lgkmcnt(0)
	v_pk_add_f32 v[8:9], v[6:7], v[0:1]
	v_pk_add_f32 v[0:1], v[6:7], v[0:1] neg_lo:[0,1] neg_hi:[0,1]
	v_mov_b32_e32 v6, v9
	v_mov_b32_e32 v7, v0
	;; [unrolled: 1-line block ×3, first 2 shown]
	s_waitcnt vmcnt(0)
	v_pk_mul_f32 v[10:11], v[6:7], v[2:3] op_sel:[0,1]
	s_nop 0
	v_pk_add_f32 v[12:13], v[8:9], v[10:11] op_sel:[0,1] op_sel_hi:[1,0]
	v_mov_b32_e32 v9, v10
	v_mov_b32_e32 v0, v11
	v_pk_fma_f32 v[10:11], v[2:3], v[6:7], v[12:13] neg_lo:[1,0,0] neg_hi:[1,0,0]
	v_pk_fma_f32 v[12:13], v[2:3], v[6:7], v[12:13] op_sel_hi:[0,1,1]
	v_pk_add_f32 v[0:1], v[8:9], v[0:1] neg_lo:[0,1] neg_hi:[0,1]
	v_mov_b32_e32 v11, v13
	v_pk_fma_f32 v[0:1], v[2:3], v[6:7], v[0:1] op_sel_hi:[0,1,1]
	ds_write_b64 v46, v[10:11] offset:6800
	ds_write_b64 v4, v[0:1] offset:9520
	s_waitcnt lgkmcnt(0)
	s_barrier
	s_barrier
	ds_read2_b64 v[4:7], v46 offset1:120
	ds_read_b64 v[88:89], v46 offset:15360
	ds_read2_b64 v[8:11], v16 offset0:16 offset1:136
	ds_read2_b64 v[12:15], v17 offset0:112 offset1:232
	v_add_u32_e32 v16, 0x2c00, v46
	s_waitcnt lgkmcnt(2)
	v_pk_add_f32 v[54:55], v[88:89], v[6:7]
	v_pk_add_f32 v[0:1], v[6:7], v[88:89] neg_lo:[0,1] neg_hi:[0,1]
	v_mov_b32_e32 v167, v55
	v_mov_b32_e32 v166, v1
	;; [unrolled: 1-line block ×3, first 2 shown]
	v_accvgpr_write_b32 a7, v1
	v_mov_b32_e32 v83, v0
	v_pk_mul_f32 v[94:95], v[166:167], s[22:23]
	s_waitcnt lgkmcnt(0)
	v_pk_add_f32 v[52:53], v[10:11], v[12:13]
	v_pk_add_f32 v[58:59], v[12:13], v[10:11] neg_lo:[0,1] neg_hi:[0,1]
	v_accvgpr_write_b32 a6, v0
	v_pk_fma_f32 v[90:91], v[82:83], s[2:3], v[94:95]
	v_pk_fma_f32 v[0:1], v[82:83], s[2:3], v[94:95] neg_lo:[0,0,1] neg_hi:[0,0,1]
	v_mov_b32_e32 v48, v59
	v_mov_b32_e32 v49, v53
	;; [unrolled: 1-line block ×3, first 2 shown]
	v_add_u32_e32 v91, 0xc00, v46
	ds_read2_b64 v[16:19], v16 offset0:32 offset1:152
	ds_read2_b64 v[20:23], v91 offset0:96 offset1:216
	v_pk_mul_f32 v[98:99], v[48:49], s[18:19]
	v_mov_b32_e32 v84, v52
	v_mov_b32_e32 v85, v58
	v_pk_fma_f32 v[96:97], v[84:85], s[6:7], v[98:99]
	v_pk_fma_f32 v[2:3], v[84:85], s[6:7], v[98:99] neg_lo:[0,0,1] neg_hi:[0,0,1]
	v_pk_add_f32 v[50:51], v[8:9], v[14:15]
	v_pk_add_f32 v[60:61], v[14:15], v[8:9] neg_lo:[0,1] neg_hi:[0,1]
	v_pk_add_f32 v[0:1], v[4:5], v[0:1]
	v_mov_b32_e32 v3, v97
	v_pk_add_f32 v[0:1], v[2:3], v[0:1]
	v_mov_b32_e32 v2, v61
	v_mov_b32_e32 v3, v51
	v_pk_mul_f32 v[100:101], v[2:3], s[34:35]
	v_mov_b32_e32 v86, v50
	v_mov_b32_e32 v87, v60
	s_waitcnt lgkmcnt(0)
	v_pk_add_f32 v[62:63], v[18:19], v[20:21]
	v_pk_add_f32 v[66:67], v[20:21], v[18:19] neg_lo:[0,1] neg_hi:[0,1]
	v_pk_fma_f32 v[104:105], v[86:87], s[8:9], v[100:101]
	v_pk_fma_f32 v[24:25], v[86:87], s[8:9], v[100:101] neg_lo:[0,0,1] neg_hi:[0,0,1]
	v_mov_b32_e32 v172, v67
	v_mov_b32_e32 v173, v63
	;; [unrolled: 1-line block ×5, first 2 shown]
	v_pk_mul_f32 v[108:109], v[172:173], s[26:27]
	v_pk_add_f32 v[0:1], v[24:25], v[0:1]
	v_pk_fma_f32 v[106:107], v[92:93], s[10:11], v[108:109]
	v_pk_fma_f32 v[24:25], v[92:93], s[10:11], v[108:109] neg_lo:[0,0,1] neg_hi:[0,0,1]
	v_pk_add_f32 v[64:65], v[16:17], v[22:23]
	v_mov_b32_e32 v25, v107
	v_pk_add_f32 v[0:1], v[24:25], v[0:1]
	v_add_u32_e32 v24, 0x1400, v46
	ds_read2_b64 v[28:31], v24 offset0:80 offset1:200
	ds_read2_b64 v[24:27], v47 offset0:48 offset1:168
	v_pk_add_f32 v[70:71], v[22:23], v[16:17] neg_lo:[0,1] neg_hi:[0,1]
	v_mov_b32_e32 v205, v65
	v_mov_b32_e32 v204, v71
	;; [unrolled: 1-line block ×4, first 2 shown]
	v_pk_mul_f32 v[112:113], v[204:205], s[40:41]
	s_waitcnt lgkmcnt(0)
	v_pk_add_f32 v[68:69], v[26:27], v[28:29]
	v_pk_add_f32 v[74:75], v[28:29], v[26:27] neg_lo:[0,1] neg_hi:[0,1]
	v_pk_fma_f32 v[114:115], v[102:103], s[12:13], v[112:113]
	v_pk_fma_f32 v[32:33], v[102:103], s[12:13], v[112:113] neg_lo:[0,0,1] neg_hi:[0,0,1]
	v_mov_b32_e32 v206, v75
	v_mov_b32_e32 v207, v69
	;; [unrolled: 1-line block ×5, first 2 shown]
	v_pk_mul_f32 v[126:127], v[206:207], s[38:39]
	v_pk_add_f32 v[72:73], v[24:25], v[30:31]
	v_pk_add_f32 v[76:77], v[30:31], v[24:25] neg_lo:[0,1] neg_hi:[0,1]
	v_pk_add_f32 v[0:1], v[32:33], v[0:1]
	v_pk_fma_f32 v[124:125], v[110:111], s[14:15], v[126:127]
	v_pk_fma_f32 v[32:33], v[110:111], s[14:15], v[126:127] neg_lo:[0,0,1] neg_hi:[0,0,1]
	v_mov_b32_e32 v238, v77
	v_mov_b32_e32 v239, v73
	;; [unrolled: 1-line block ×5, first 2 shown]
	v_pk_mul_f32 v[132:133], v[238:239], s[46:47]
	v_pk_add_f32 v[0:1], v[32:33], v[0:1]
	v_pk_fma_f32 v[130:131], v[120:121], s[16:17], v[132:133]
	v_pk_fma_f32 v[32:33], v[120:121], s[16:17], v[132:133] neg_lo:[0,0,1] neg_hi:[0,0,1]
	v_pk_mul_f32 v[128:129], v[166:167], s[18:19]
	v_mov_b32_e32 v33, v131
	v_pk_add_f32 v[56:57], v[32:33], v[0:1]
	v_pk_fma_f32 v[116:117], v[82:83], s[6:7], v[128:129]
	v_pk_fma_f32 v[0:1], v[82:83], s[6:7], v[128:129] neg_lo:[0,0,1] neg_hi:[0,0,1]
	v_pk_mul_f32 v[122:123], v[48:49], s[26:27]
	v_mov_b32_e32 v1, v117
	v_pk_fma_f32 v[118:119], v[84:85], s[10:11], v[122:123]
	v_pk_fma_f32 v[32:33], v[84:85], s[10:11], v[122:123] neg_lo:[0,0,1] neg_hi:[0,0,1]
	s_mov_b32 s18, 0xbf7ba420
	v_mov_b32_e32 v33, v119
	v_pk_add_f32 v[0:1], v[4:5], v[0:1]
	v_pk_mul_f32 v[136:137], v[2:3], s[38:39]
	s_mov_b32 s19, 0xbe3c28d5
	v_pk_add_f32 v[0:1], v[32:33], v[0:1]
	v_pk_fma_f32 v[134:135], v[86:87], s[14:15], v[136:137]
	v_pk_fma_f32 v[32:33], v[86:87], s[14:15], v[136:137] neg_lo:[0,0,1] neg_hi:[0,0,1]
	s_mov_b32 s44, s19
	s_mov_b32 s45, s18
	v_mov_b32_e32 v33, v135
	v_pk_mul_f32 v[140:141], v[172:173], s[44:45]
	v_pk_add_f32 v[0:1], v[32:33], v[0:1]
	v_pk_fma_f32 v[138:139], v[92:93], s[18:19], v[140:141]
	v_pk_fma_f32 v[32:33], v[92:93], s[18:19], v[140:141] neg_lo:[0,0,1] neg_hi:[0,0,1]
	v_pk_mul_f32 v[144:145], v[204:205], s[48:49]
	v_mov_b32_e32 v33, v139
	v_pk_add_f32 v[0:1], v[32:33], v[0:1]
	v_pk_fma_f32 v[142:143], v[102:103], s[36:37], v[144:145]
	v_pk_fma_f32 v[32:33], v[102:103], s[36:37], v[144:145] neg_lo:[0,0,1] neg_hi:[0,0,1]
	v_pk_mul_f32 v[148:149], v[206:207], s[50:51]
	v_mov_b32_e32 v33, v143
	;; [unrolled: 5-line block ×3, first 2 shown]
	v_pk_add_f32 v[0:1], v[32:33], v[0:1]
	v_add_u32_e32 v32, 0x1c00, v46
	ds_read2_b64 v[32:35], v32 offset0:64 offset1:184
	v_pk_fma_f32 v[152:153], v[120:121], s[28:29], v[150:151]
	v_pk_fma_f32 v[40:41], v[120:121], s[28:29], v[150:151] neg_lo:[0,0,1] neg_hi:[0,0,1]
	s_mov_b32 s21, 0x3eb8f4ab
	v_mov_b32_e32 v41, v153
	s_waitcnt lgkmcnt(0)
	v_pk_add_f32 v[78:79], v[34:35], v[32:33]
	v_pk_add_f32 v[80:81], v[32:33], v[34:35] neg_lo:[0,1] neg_hi:[0,1]
	v_pk_add_f32 v[0:1], v[40:41], v[0:1]
	v_mov_b32_e32 v40, v81
	v_mov_b32_e32 v41, v79
	s_mov_b32 s52, s21
	v_mov_b32_e32 v194, v78
	v_mov_b32_e32 v195, v80
	s_mov_b32 s20, s2
	v_pk_mul_f32 v[158:159], v[40:41], s[52:53]
	v_pk_mul_f32 v[162:163], v[166:167], s[34:35]
	v_pk_fma_f32 v[156:157], v[194:195], s[20:21], v[158:159]
	v_pk_fma_f32 v[42:43], v[194:195], s[20:21], v[158:159] neg_lo:[0,0,1] neg_hi:[0,0,1]
	v_pk_fma_f32 v[154:155], v[82:83], s[8:9], v[162:163]
	v_mov_b32_e32 v43, v157
	v_pk_add_f32 v[240:241], v[42:43], v[0:1]
	v_pk_fma_f32 v[0:1], v[82:83], s[8:9], v[162:163] neg_lo:[0,0,1] neg_hi:[0,0,1]
	v_pk_mul_f32 v[164:165], v[48:49], s[38:39]
	v_mov_b32_e32 v1, v155
	v_pk_fma_f32 v[160:161], v[84:85], s[14:15], v[164:165]
	v_pk_fma_f32 v[42:43], v[84:85], s[14:15], v[164:165] neg_lo:[0,0,1] neg_hi:[0,0,1]
	s_mov_b32 s25, s18
	v_mov_b32_e32 v43, v161
	v_pk_add_f32 v[0:1], v[4:5], v[0:1]
	s_mov_b32 s42, s18
	v_pk_mul_f32 v[174:175], v[2:3], s[24:25]
	v_pk_add_f32 v[0:1], v[42:43], v[0:1]
	v_pk_fma_f32 v[168:169], v[86:87], s[42:43], v[174:175]
	v_pk_fma_f32 v[42:43], v[86:87], s[42:43], v[174:175] neg_lo:[0,0,1] neg_hi:[0,0,1]
	v_pk_mul_f32 v[176:177], v[172:173], s[50:51]
	v_mov_b32_e32 v43, v169
	s_mov_b32 s25, 0x3f2c7751
	v_pk_add_f32 v[0:1], v[42:43], v[0:1]
	v_pk_fma_f32 v[170:171], v[92:93], s[30:31], v[176:177]
	v_pk_fma_f32 v[42:43], v[92:93], s[30:31], v[176:177] neg_lo:[0,0,1] neg_hi:[0,0,1]
	s_mov_b32 s54, s25
	v_mov_b32_e32 v43, v171
	s_mov_b32 s24, s6
	v_pk_mul_f32 v[190:191], v[204:205], s[54:55]
	v_pk_add_f32 v[0:1], v[42:43], v[0:1]
	v_pk_fma_f32 v[184:185], v[102:103], s[24:25], v[190:191]
	v_pk_fma_f32 v[42:43], v[102:103], s[24:25], v[190:191] neg_lo:[0,0,1] neg_hi:[0,0,1]
	v_pk_mul_f32 v[196:197], v[206:207], s[22:23]
	v_mov_b32_e32 v43, v185
	v_pk_add_f32 v[0:1], v[42:43], v[0:1]
	v_pk_fma_f32 v[188:189], v[110:111], s[2:3], v[196:197]
	v_pk_fma_f32 v[42:43], v[110:111], s[2:3], v[196:197] neg_lo:[0,0,1] neg_hi:[0,0,1]
	v_pk_mul_f32 v[200:201], v[238:239], s[26:27]
	v_mov_b32_e32 v43, v189
	;; [unrolled: 5-line block ×4, first 2 shown]
	v_pk_add_f32 v[0:1], v[42:43], v[0:1]
	v_pk_fma_f32 v[178:179], v[82:83], s[10:11], v[182:183]
	v_accvgpr_write_b32 a3, v1
	v_accvgpr_write_b32 a2, v0
	v_pk_fma_f32 v[0:1], v[82:83], s[10:11], v[182:183] neg_lo:[0,0,1] neg_hi:[0,0,1]
	v_pk_mul_f32 v[186:187], v[48:49], s[44:45]
	v_mov_b32_e32 v1, v179
	v_pk_fma_f32 v[180:181], v[84:85], s[18:19], v[186:187]
	v_pk_fma_f32 v[42:43], v[84:85], s[18:19], v[186:187] neg_lo:[0,0,1] neg_hi:[0,0,1]
	v_pk_add_f32 v[0:1], v[4:5], v[0:1]
	v_mov_b32_e32 v43, v181
	v_pk_mul_f32 v[212:213], v[2:3], s[50:51]
	v_pk_add_f32 v[0:1], v[42:43], v[0:1]
	v_pk_fma_f32 v[208:209], v[86:87], s[30:31], v[212:213]
	v_pk_fma_f32 v[42:43], v[86:87], s[30:31], v[212:213] neg_lo:[0,0,1] neg_hi:[0,0,1]
	v_pk_mul_f32 v[216:217], v[172:173], s[52:53]
	v_mov_b32_e32 v43, v209
	v_pk_add_f32 v[0:1], v[42:43], v[0:1]
	v_pk_fma_f32 v[210:211], v[92:93], s[20:21], v[216:217]
	v_pk_fma_f32 v[42:43], v[92:93], s[20:21], v[216:217] neg_lo:[0,0,1] neg_hi:[0,0,1]
	v_pk_mul_f32 v[220:221], v[204:205], s[34:35]
	v_mov_b32_e32 v43, v211
	;; [unrolled: 5-line block ×3, first 2 shown]
	s_mov_b32 s27, 0x3f4c4adb
	v_pk_add_f32 v[0:1], v[42:43], v[0:1]
	v_pk_fma_f32 v[218:219], v[110:111], s[16:17], v[222:223]
	v_pk_fma_f32 v[42:43], v[110:111], s[16:17], v[222:223] neg_lo:[0,0,1] neg_hi:[0,0,1]
	s_mov_b32 s46, s27
	s_mov_b32 s47, s14
	v_mov_b32_e32 v43, v219
	s_mov_b32 s26, s14
	v_pk_mul_f32 v[228:229], v[238:239], s[46:47]
	v_pk_add_f32 v[0:1], v[42:43], v[0:1]
	v_pk_fma_f32 v[224:225], v[120:121], s[26:27], v[228:229]
	v_pk_fma_f32 v[42:43], v[120:121], s[26:27], v[228:229] neg_lo:[0,0,1] neg_hi:[0,0,1]
	v_pk_mul_f32 v[232:233], v[40:41], s[54:55]
	v_mov_b32_e32 v43, v225
	v_pk_add_f32 v[0:1], v[42:43], v[0:1]
	v_pk_fma_f32 v[226:227], v[194:195], s[24:25], v[232:233]
	v_pk_fma_f32 v[42:43], v[194:195], s[24:25], v[232:233] neg_lo:[0,0,1] neg_hi:[0,0,1]
	v_pk_mul_f32 v[234:235], v[166:167], s[40:41]
	v_mov_b32_e32 v43, v227
	v_pk_add_f32 v[0:1], v[42:43], v[0:1]
	v_pk_fma_f32 v[166:167], v[82:83], s[12:13], v[234:235]
	v_accvgpr_write_b32 a5, v1
	v_accvgpr_write_b32 a4, v0
	v_pk_fma_f32 v[0:1], v[82:83], s[12:13], v[234:235] neg_lo:[0,0,1] neg_hi:[0,0,1]
	v_pk_mul_f32 v[236:237], v[48:49], s[48:49]
	v_mov_b32_e32 v1, v167
	v_pk_fma_f32 v[230:231], v[84:85], s[36:37], v[236:237]
	v_pk_fma_f32 v[42:43], v[84:85], s[36:37], v[236:237] neg_lo:[0,0,1] neg_hi:[0,0,1]
	v_pk_mul_f32 v[244:245], v[2:3], s[54:55]
	v_mov_b32_e32 v43, v231
	v_pk_add_f32 v[0:1], v[4:5], v[0:1]
	v_pk_fma_f32 v[242:243], v[86:87], s[24:25], v[244:245]
	v_pk_fma_f32 v[2:3], v[86:87], s[24:25], v[244:245] neg_lo:[0,0,1] neg_hi:[0,0,1]
	v_pk_add_f32 v[0:1], v[42:43], v[0:1]
	v_mov_b32_e32 v3, v243
	v_pk_mul_f32 v[246:247], v[172:173], s[34:35]
	v_pk_add_f32 v[0:1], v[2:3], v[0:1]
	v_pk_fma_f32 v[172:173], v[92:93], s[8:9], v[246:247]
	v_pk_fma_f32 v[2:3], v[92:93], s[8:9], v[246:247] neg_lo:[0,0,1] neg_hi:[0,0,1]
	v_pk_mul_f32 v[248:249], v[204:205], s[44:45]
	v_mov_b32_e32 v3, v173
	s_mov_b32 s35, 0x3f7ee86f
	v_pk_add_f32 v[0:1], v[2:3], v[0:1]
	v_pk_fma_f32 v[204:205], v[102:103], s[18:19], v[248:249]
	v_pk_fma_f32 v[2:3], v[102:103], s[18:19], v[248:249] neg_lo:[0,0,1] neg_hi:[0,0,1]
	s_mov_b32 s40, s35
	s_mov_b32 s41, s10
	v_mov_b32_e32 v3, v205
	v_pk_mul_f32 v[250:251], v[206:207], s[40:41]
	s_mov_b32 s34, s10
	v_pk_add_f32 v[0:1], v[2:3], v[0:1]
	v_pk_fma_f32 v[206:207], v[110:111], s[34:35], v[250:251]
	v_pk_fma_f32 v[2:3], v[110:111], s[34:35], v[250:251] neg_lo:[0,0,1] neg_hi:[0,0,1]
	v_pk_mul_f32 v[254:255], v[238:239], s[22:23]
	v_mov_b32_e32 v3, v207
	v_pk_add_f32 v[0:1], v[2:3], v[0:1]
	v_pk_fma_f32 v[238:239], v[120:121], s[2:3], v[254:255]
	v_pk_fma_f32 v[2:3], v[120:121], s[2:3], v[254:255] neg_lo:[0,0,1] neg_hi:[0,0,1]
	s_movk_i32 s22, 0x78
	v_mov_b32_e32 v3, v239
	v_pk_add_f32 v[2:3], v[2:3], v[0:1]
	v_pk_mul_f32 v[0:1], v[40:41], s[38:39]
	v_pk_mul_f32 v[40:41], v[40:41], s[44:45]
	v_pk_fma_f32 v[252:253], v[194:195], s[14:15], v[0:1]
	v_pk_fma_f32 v[42:43], v[194:195], s[14:15], v[0:1] neg_lo:[0,0,1] neg_hi:[0,0,1]
	v_cmp_gt_u32_e32 vcc, s22, v36
	v_mov_b32_e32 v43, v253
	v_pk_add_f32 v[48:49], v[42:43], v[2:3]
	v_pk_fma_f32 v[42:43], v[194:195], s[18:19], v[40:41]
	v_pk_fma_f32 v[2:3], v[194:195], s[18:19], v[40:41] neg_lo:[0,0,1] neg_hi:[0,0,1]
	s_nop 0
	v_mov_b32_e32 v3, v43
	v_pk_add_f32 v[2:3], v[2:3], v[56:57]
	s_barrier
	s_and_saveexec_b64 s[22:23], vcc
	s_cbranch_execz .LBB0_19
; %bb.18:
	v_pk_add_f32 v[6:7], v[4:5], v[6:7]
	v_accvgpr_write_b32 a1, v91
	v_pk_add_f32 v[6:7], v[6:7], v[12:13]
	v_pk_mul_f32 v[12:13], v[82:83], s[2:3]
	v_pk_add_f32 v[6:7], v[6:7], v[14:15]
	v_pk_mul_f32 v[14:15], v[84:85], s[6:7]
	v_pk_add_f32 v[6:7], v[6:7], v[20:21]
	v_pk_add_f32 v[14:15], v[98:99], v[14:15] neg_lo:[0,1] neg_hi:[0,1]
	v_pk_add_f32 v[6:7], v[6:7], v[22:23]
	v_pk_add_f32 v[12:13], v[94:95], v[12:13] neg_lo:[0,1] neg_hi:[0,1]
	v_pk_add_f32 v[6:7], v[6:7], v[28:29]
	v_mov_b32_e32 v97, v15
	v_pk_add_f32 v[6:7], v[6:7], v[30:31]
	v_pk_mul_f32 v[14:15], v[120:121], s[28:29]
	v_pk_add_f32 v[6:7], v[6:7], v[32:33]
	v_pk_mul_f32 v[20:21], v[86:87], s[8:9]
	v_pk_add_f32 v[6:7], v[6:7], v[34:35]
	v_mov_b32_e32 v91, v13
	v_pk_add_f32 v[6:7], v[6:7], v[24:25]
	v_pk_add_f32 v[14:15], v[150:151], v[14:15] neg_lo:[0,1] neg_hi:[0,1]
	v_pk_add_f32 v[6:7], v[6:7], v[26:27]
	v_pk_add_f32 v[34:35], v[4:5], v[90:91]
	;; [unrolled: 1-line block ×3, first 2 shown]
	v_pk_add_f32 v[20:21], v[100:101], v[20:21] neg_lo:[0,1] neg_hi:[0,1]
	v_pk_add_f32 v[6:7], v[6:7], v[18:19]
	v_pk_mul_f32 v[90:91], v[82:83], s[8:9]
	v_pk_add_f32 v[6:7], v[6:7], v[8:9]
	v_pk_mul_f32 v[8:9], v[82:83], s[6:7]
	;; [unrolled: 2-line block ×4, first 2 shown]
	v_pk_add_f32 v[8:9], v[128:129], v[8:9] neg_lo:[0,1] neg_hi:[0,1]
	v_mov_b32_e32 v153, v15
	v_pk_add_f32 v[14:15], v[158:159], v[88:89] neg_lo:[0,1] neg_hi:[0,1]
	v_pk_mul_f32 v[28:29], v[86:87], s[14:15]
	v_mov_b32_e32 v105, v21
	v_pk_mul_f32 v[20:21], v[84:85], s[14:15]
	v_mov_b32_e32 v117, v9
	v_pk_add_f32 v[10:11], v[122:123], v[10:11] neg_lo:[0,1] neg_hi:[0,1]
	v_mov_b32_e32 v157, v15
	v_pk_add_f32 v[14:15], v[162:163], v[90:91] neg_lo:[0,1] neg_hi:[0,1]
	v_pk_mul_f32 v[22:23], v[92:93], s[10:11]
	v_pk_mul_f32 v[30:31], v[92:93], s[18:19]
	;; [unrolled: 1-line block ×3, first 2 shown]
	v_mov_b32_e32 v119, v11
	v_pk_add_f32 v[116:117], v[4:5], v[116:117]
	v_pk_add_f32 v[28:29], v[136:137], v[28:29] neg_lo:[0,1] neg_hi:[0,1]
	v_mov_b32_e32 v155, v15
	v_pk_add_f32 v[20:21], v[164:165], v[20:21] neg_lo:[0,1] neg_hi:[0,1]
	v_pk_mul_f32 v[12:13], v[102:103], s[36:37]
	v_pk_add_f32 v[34:35], v[96:97], v[34:35]
	v_pk_add_f32 v[22:23], v[108:109], v[22:23] neg_lo:[0,1] neg_hi:[0,1]
	v_pk_mul_f32 v[96:97], v[92:93], s[30:31]
	v_pk_add_f32 v[116:117], v[118:119], v[116:117]
	v_mov_b32_e32 v135, v29
	v_pk_add_f32 v[30:31], v[140:141], v[30:31] neg_lo:[0,1] neg_hi:[0,1]
	v_pk_add_f32 v[14:15], v[4:5], v[154:155]
	v_mov_b32_e32 v161, v21
	v_pk_add_f32 v[20:21], v[174:175], v[94:95] neg_lo:[0,1] neg_hi:[0,1]
	v_mov_b32_e32 v107, v23
	v_pk_mul_f32 v[22:23], v[102:103], s[24:25]
	v_pk_add_f32 v[28:29], v[134:135], v[116:117]
	v_mov_b32_e32 v139, v31
	v_pk_add_f32 v[12:13], v[144:145], v[12:13] neg_lo:[0,1] neg_hi:[0,1]
	v_pk_add_f32 v[14:15], v[160:161], v[14:15]
	v_mov_b32_e32 v169, v21
	v_pk_add_f32 v[20:21], v[176:177], v[96:97] neg_lo:[0,1] neg_hi:[0,1]
	v_pk_mul_f32 v[24:25], v[102:103], s[12:13]
	v_pk_mul_f32 v[32:33], v[110:111], s[30:31]
	;; [unrolled: 1-line block ×3, first 2 shown]
	v_pk_add_f32 v[28:29], v[138:139], v[28:29]
	v_mov_b32_e32 v143, v13
	v_pk_add_f32 v[14:15], v[168:169], v[14:15]
	v_mov_b32_e32 v171, v21
	v_pk_add_f32 v[20:21], v[190:191], v[22:23] neg_lo:[0,1] neg_hi:[0,1]
	v_pk_mul_f32 v[26:27], v[110:111], s[14:15]
	v_pk_add_f32 v[34:35], v[104:105], v[34:35]
	v_pk_add_f32 v[24:25], v[112:113], v[24:25] neg_lo:[0,1] neg_hi:[0,1]
	v_pk_mul_f32 v[100:101], v[120:121], s[10:11]
	v_pk_add_f32 v[12:13], v[142:143], v[28:29]
	v_pk_add_f32 v[28:29], v[148:149], v[32:33] neg_lo:[0,1] neg_hi:[0,1]
	v_pk_add_f32 v[14:15], v[170:171], v[14:15]
	v_mov_b32_e32 v185, v21
	v_pk_add_f32 v[20:21], v[196:197], v[98:99] neg_lo:[0,1] neg_hi:[0,1]
	v_pk_mul_f32 v[16:17], v[120:121], s[16:17]
	v_pk_add_f32 v[34:35], v[106:107], v[34:35]
	v_mov_b32_e32 v115, v25
	v_pk_mul_f32 v[24:25], v[194:195], s[16:17]
	v_pk_add_f32 v[26:27], v[126:127], v[26:27] neg_lo:[0,1] neg_hi:[0,1]
	v_mov_b32_e32 v147, v29
	v_pk_add_f32 v[14:15], v[184:185], v[14:15]
	v_mov_b32_e32 v189, v21
	v_pk_add_f32 v[20:21], v[200:201], v[100:101] neg_lo:[0,1] neg_hi:[0,1]
	v_pk_add_f32 v[34:35], v[114:115], v[34:35]
	v_mov_b32_e32 v125, v27
	v_pk_add_f32 v[16:17], v[132:133], v[16:17] neg_lo:[0,1] neg_hi:[0,1]
	v_pk_add_f32 v[12:13], v[146:147], v[12:13]
	v_pk_add_f32 v[14:15], v[188:189], v[14:15]
	v_mov_b32_e32 v193, v21
	v_pk_add_f32 v[20:21], v[202:203], v[24:25] neg_lo:[0,1] neg_hi:[0,1]
	v_pk_add_f32 v[34:35], v[124:125], v[34:35]
	v_mov_b32_e32 v131, v17
	v_pk_add_f32 v[12:13], v[152:153], v[12:13]
	v_pk_add_f32 v[14:15], v[192:193], v[14:15]
	v_mov_b32_e32 v199, v21
	v_pk_mul_f32 v[106:107], v[84:85], s[18:19]
	v_pk_add_f32 v[34:35], v[130:131], v[34:35]
	v_lshl_add_u32 v130, v36, 7, v46
	v_pk_add_f32 v[12:13], v[156:157], v[12:13]
	v_pk_add_f32 v[14:15], v[198:199], v[14:15]
	v_pk_mul_f32 v[26:27], v[86:87], s[30:31]
	ds_write2_b64 v130, v[12:13], v[14:15] offset0:2 offset1:3
	v_pk_add_f32 v[14:15], v[186:187], v[106:107] neg_lo:[0,1] neg_hi:[0,1]
	v_pk_mul_f32 v[108:109], v[92:93], s[20:21]
	v_mov_b32_e32 v181, v15
	v_pk_add_f32 v[14:15], v[212:213], v[26:27] neg_lo:[0,1] neg_hi:[0,1]
	v_pk_mul_f32 v[112:113], v[102:103], s[8:9]
	v_mov_b32_e32 v209, v15
	;; [unrolled: 3-line block ×3, first 2 shown]
	v_pk_add_f32 v[14:15], v[220:221], v[112:113] neg_lo:[0,1] neg_hi:[0,1]
	v_pk_mul_f32 v[18:19], v[194:195], s[18:19]
	v_pk_mul_f32 v[114:115], v[120:121], s[26:27]
	v_mov_b32_e32 v215, v15
	v_pk_add_f32 v[14:15], v[222:223], v[16:17] neg_lo:[0,1] neg_hi:[0,1]
	v_pk_add_f32 v[18:19], v[40:41], v[18:19] neg_lo:[0,1] neg_hi:[0,1]
	v_pk_mul_f32 v[40:41], v[194:195], s[24:25]
	v_mov_b32_e32 v219, v15
	v_pk_add_f32 v[14:15], v[228:229], v[114:115] neg_lo:[0,1] neg_hi:[0,1]
	v_pk_mul_f32 v[104:105], v[82:83], s[10:11]
	v_pk_mul_f32 v[82:83], v[82:83], s[12:13]
	v_mov_b32_e32 v225, v15
	v_pk_add_f32 v[14:15], v[232:233], v[40:41] neg_lo:[0,1] neg_hi:[0,1]
	v_pk_mul_f32 v[84:85], v[84:85], s[36:37]
	v_pk_add_f32 v[12:13], v[182:183], v[104:105] neg_lo:[0,1] neg_hi:[0,1]
	v_mov_b32_e32 v227, v15
	v_pk_add_f32 v[14:15], v[234:235], v[82:83] neg_lo:[0,1] neg_hi:[0,1]
	v_pk_mul_f32 v[86:87], v[86:87], s[24:25]
	v_mov_b32_e32 v179, v13
	v_mov_b32_e32 v167, v15
	v_pk_add_f32 v[16:17], v[236:237], v[84:85] neg_lo:[0,1] neg_hi:[0,1]
	v_pk_mul_f32 v[92:93], v[92:93], s[8:9]
	v_pk_add_f32 v[12:13], v[4:5], v[178:179]
	v_pk_add_f32 v[14:15], v[4:5], v[166:167]
	v_mov_b32_e32 v231, v17
	v_pk_add_f32 v[16:17], v[244:245], v[86:87] neg_lo:[0,1] neg_hi:[0,1]
	v_pk_mul_f32 v[102:103], v[102:103], s[18:19]
	v_pk_add_f32 v[12:13], v[180:181], v[12:13]
	v_pk_add_f32 v[14:15], v[230:231], v[14:15]
	v_mov_b32_e32 v243, v17
	v_pk_add_f32 v[16:17], v[246:247], v[92:93] neg_lo:[0,1] neg_hi:[0,1]
	v_pk_mul_f32 v[110:111], v[110:111], s[34:35]
	v_pk_add_f32 v[12:13], v[208:209], v[12:13]
	v_pk_add_f32 v[14:15], v[242:243], v[14:15]
	v_mov_b32_e32 v173, v17
	v_pk_add_f32 v[16:17], v[248:249], v[102:103] neg_lo:[0,1] neg_hi:[0,1]
	v_pk_mul_f32 v[120:121], v[120:121], s[2:3]
	v_pk_add_f32 v[12:13], v[210:211], v[12:13]
	v_pk_add_f32 v[14:15], v[172:173], v[14:15]
	v_mov_b32_e32 v205, v17
	v_pk_add_f32 v[16:17], v[250:251], v[110:111] neg_lo:[0,1] neg_hi:[0,1]
	v_pk_mul_f32 v[124:125], v[194:195], s[14:15]
	v_pk_add_f32 v[12:13], v[214:215], v[12:13]
	v_pk_add_f32 v[14:15], v[204:205], v[14:15]
	v_mov_b32_e32 v207, v17
	v_pk_add_f32 v[16:17], v[254:255], v[120:121] neg_lo:[0,1] neg_hi:[0,1]
	v_accvgpr_read_b32 v57, a7
	v_pk_add_f32 v[12:13], v[218:219], v[12:13]
	v_pk_add_f32 v[14:15], v[206:207], v[14:15]
	v_mov_b32_e32 v239, v17
	v_pk_add_f32 v[0:1], v[0:1], v[124:125] neg_lo:[0,1] neg_hi:[0,1]
	s_mov_b32 s20, s15
	v_accvgpr_read_b32 v56, a6
	v_pk_add_f32 v[12:13], v[224:225], v[12:13]
	v_pk_add_f32 v[14:15], v[238:239], v[14:15]
	v_mov_b32_e32 v253, v1
	v_mov_b32_e32 v43, v19
	v_pk_mul_f32 v[18:19], v[56:57], s[20:21] op_sel_hi:[1,0]
	s_mov_b32 s24, s31
	v_pk_add_f32 v[12:13], v[226:227], v[12:13]
	v_pk_add_f32 v[0:1], v[252:253], v[14:15]
	;; [unrolled: 1-line block ×3, first 2 shown]
	v_pk_mul_f32 v[42:43], v[58:59], s[24:25] op_sel_hi:[1,0]
	ds_write2_b64 v130, v[12:13], v[0:1] offset0:4 offset1:5
	v_pk_fma_f32 v[0:1], v[54:55], s[14:15], v[18:19] op_sel:[0,0,1] op_sel_hi:[1,0,0]
	v_pk_fma_f32 v[12:13], v[54:55], s[14:15], v[18:19] op_sel:[0,0,1] op_sel_hi:[1,0,0] neg_lo:[0,0,1] neg_hi:[0,0,1]
	s_mov_b32 s34, s3
	v_mov_b32_e32 v14, v0
	v_mov_b32_e32 v15, v13
	v_pk_fma_f32 v[16:17], v[52:53], s[12:13], v[42:43] op_sel:[0,0,1] op_sel_hi:[1,0,0]
	v_pk_fma_f32 v[18:19], v[52:53], s[12:13], v[42:43] op_sel:[0,0,1] op_sel_hi:[1,0,0] neg_lo:[0,0,1] neg_hi:[0,0,1]
	ds_write2_b64 v130, v[6:7], v[34:35] offset1:1
	v_pk_mul_f32 v[6:7], v[60:61], s[34:35] op_sel_hi:[1,0]
	v_pk_add_f32 v[14:15], v[4:5], v[14:15]
	v_mov_b32_e32 v20, v16
	v_mov_b32_e32 v21, v19
	s_mov_b32 s26, s17
	v_pk_add_f32 v[14:15], v[20:21], v[14:15]
	v_pk_fma_f32 v[20:21], v[50:51], s[2:3], v[6:7] op_sel:[0,0,1] op_sel_hi:[1,0,0]
	v_pk_fma_f32 v[6:7], v[50:51], s[2:3], v[6:7] op_sel:[0,0,1] op_sel_hi:[1,0,0] neg_lo:[0,0,1] neg_hi:[0,0,1]
	v_pk_mul_f32 v[34:35], v[66:67], s[26:27] op_sel_hi:[1,0]
	v_mov_b32_e32 v22, v20
	v_mov_b32_e32 v23, v7
	s_mov_b32 s24, s35
	v_pk_add_f32 v[14:15], v[22:23], v[14:15]
	v_pk_fma_f32 v[22:23], v[62:63], s[16:17], v[34:35] op_sel:[0,0,1] op_sel_hi:[1,0,0]
	v_pk_fma_f32 v[24:25], v[62:63], s[16:17], v[34:35] op_sel:[0,0,1] op_sel_hi:[1,0,0] neg_lo:[0,0,1] neg_hi:[0,0,1]
	v_pk_mul_f32 v[126:127], v[70:71], s[24:25] op_sel_hi:[1,0]
	;; [unrolled: 7-line block ×5, first 2 shown]
	v_mov_b32_e32 v40, v32
	v_mov_b32_e32 v41, v35
	v_pk_add_f32 v[14:15], v[40:41], v[14:15]
	v_pk_fma_f32 v[40:41], v[78:79], s[8:9], v[10:11] op_sel:[0,0,1] op_sel_hi:[1,0,0]
	v_pk_fma_f32 v[10:11], v[78:79], s[8:9], v[10:11] op_sel:[0,0,1] op_sel_hi:[1,0,0] neg_lo:[0,0,1] neg_hi:[0,0,1]
	v_mov_b32_e32 v42, v40
	v_mov_b32_e32 v43, v11
	v_pk_add_f32 v[14:15], v[42:43], v[14:15]
	v_pk_mul_f32 v[42:43], v[56:57], s[26:27] op_sel_hi:[1,0]
	v_pk_mul_f32 v[82:83], v[58:59], s[28:29] op_sel_hi:[1,0]
	v_pk_fma_f32 v[96:97], v[54:55], s[16:17], v[42:43] op_sel:[0,0,1] op_sel_hi:[1,0,0]
	v_pk_fma_f32 v[42:43], v[54:55], s[16:17], v[42:43] op_sel:[0,0,1] op_sel_hi:[1,0,0] neg_lo:[0,0,1] neg_hi:[0,0,1]
	s_mov_b32 s36, s11
	v_mov_b32_e32 v98, v96
	v_mov_b32_e32 v99, v43
	v_pk_fma_f32 v[100:101], v[52:53], s[8:9], v[82:83] op_sel:[0,0,1] op_sel_hi:[1,0,0]
	v_pk_fma_f32 v[82:83], v[52:53], s[8:9], v[82:83] op_sel:[0,0,1] op_sel_hi:[1,0,0] neg_lo:[0,0,1] neg_hi:[0,0,1]
	v_pk_mul_f32 v[84:85], v[60:61], s[36:37] op_sel_hi:[1,0]
	v_pk_add_f32 v[98:99], v[4:5], v[98:99]
	v_mov_b32_e32 v102, v100
	v_mov_b32_e32 v103, v83
	s_mov_b32 s36, s27
	v_pk_add_f32 v[98:99], v[102:103], v[98:99]
	v_pk_fma_f32 v[102:103], v[50:51], s[10:11], v[84:85] op_sel:[0,0,1] op_sel_hi:[1,0,0]
	v_pk_fma_f32 v[84:85], v[50:51], s[10:11], v[84:85] op_sel:[0,0,1] op_sel_hi:[1,0,0] neg_lo:[0,0,1] neg_hi:[0,0,1]
	v_pk_mul_f32 v[86:87], v[66:67], s[36:37] op_sel_hi:[1,0]
	v_mov_b32_e32 v104, v102
	v_mov_b32_e32 v105, v85
	v_pk_add_f32 v[98:99], v[104:105], v[98:99]
	v_pk_fma_f32 v[104:105], v[62:63], s[14:15], v[86:87] op_sel:[0,0,1] op_sel_hi:[1,0,0]
	v_pk_fma_f32 v[86:87], v[62:63], s[14:15], v[86:87] op_sel:[0,0,1] op_sel_hi:[1,0,0] neg_lo:[0,0,1] neg_hi:[0,0,1]
	v_pk_mul_f32 v[88:89], v[70:71], s[34:35] op_sel_hi:[1,0]
	v_mov_b32_e32 v106, v104
	v_mov_b32_e32 v107, v87
	;; [unrolled: 6-line block ×3, first 2 shown]
	s_mov_b32 s34, s25
	v_pk_add_f32 v[98:99], v[108:109], v[98:99]
	v_pk_fma_f32 v[108:109], v[68:69], s[18:19], v[90:91] op_sel:[0,0,1] op_sel_hi:[1,0,0]
	v_pk_fma_f32 v[90:91], v[68:69], s[18:19], v[90:91] op_sel:[0,0,1] op_sel_hi:[1,0,0] neg_lo:[0,0,1] neg_hi:[0,0,1]
	v_pk_mul_f32 v[92:93], v[76:77], s[34:35] op_sel_hi:[1,0]
	v_mov_b32_e32 v110, v108
	v_mov_b32_e32 v111, v91
	s_mov_b32 s36, s13
	v_pk_add_f32 v[98:99], v[110:111], v[98:99]
	v_pk_fma_f32 v[110:111], v[72:73], s[6:7], v[92:93] op_sel:[0,0,1] op_sel_hi:[1,0,0]
	v_pk_fma_f32 v[92:93], v[72:73], s[6:7], v[92:93] op_sel:[0,0,1] op_sel_hi:[1,0,0] neg_lo:[0,0,1] neg_hi:[0,0,1]
	v_pk_mul_f32 v[94:95], v[80:81], s[36:37] op_sel_hi:[1,0]
	v_mov_b32_e32 v112, v110
	v_mov_b32_e32 v113, v93
	v_pk_add_f32 v[98:99], v[112:113], v[98:99]
	v_pk_fma_f32 v[112:113], v[78:79], s[12:13], v[94:95] op_sel:[0,0,1] op_sel_hi:[1,0,0]
	v_pk_fma_f32 v[94:95], v[78:79], s[12:13], v[94:95] op_sel:[0,0,1] op_sel_hi:[1,0,0] neg_lo:[0,0,1] neg_hi:[0,0,1]
	v_mov_b32_e32 v114, v112
	v_mov_b32_e32 v115, v95
	v_pk_add_f32 v[98:99], v[114:115], v[98:99]
	ds_write2_b64 v130, v[14:15], v[98:99] offset0:6 offset1:7
	v_pk_mul_f32 v[14:15], v[56:57], s[30:31] op_sel_hi:[1,0]
	s_mov_b32 s30, s21
	v_pk_mul_f32 v[56:57], v[58:59], s[30:31] op_sel_hi:[1,0]
	v_pk_mul_f32 v[58:59], v[60:61], s[26:27] op_sel_hi:[1,0]
	;; [unrolled: 1-line block ×7, first 2 shown]
	v_pk_fma_f32 v[80:81], v[54:55], s[18:19], v[14:15] op_sel:[0,0,1] op_sel_hi:[1,0,0]
	v_pk_fma_f32 v[14:15], v[54:55], s[18:19], v[14:15] op_sel:[0,0,1] op_sel_hi:[1,0,0] neg_lo:[0,0,1] neg_hi:[0,0,1]
	v_mov_b32_e32 v54, v80
	v_mov_b32_e32 v55, v15
	v_pk_fma_f32 v[98:99], v[52:53], s[2:3], v[56:57] op_sel:[0,0,1] op_sel_hi:[1,0,0]
	v_pk_fma_f32 v[52:53], v[52:53], s[2:3], v[56:57] op_sel:[0,0,1] op_sel_hi:[1,0,0] neg_lo:[0,0,1] neg_hi:[0,0,1]
	v_pk_add_f32 v[54:55], v[4:5], v[54:55]
	v_mov_b32_e32 v56, v98
	v_mov_b32_e32 v57, v53
	v_pk_add_f32 v[54:55], v[56:57], v[54:55]
	v_pk_fma_f32 v[56:57], v[50:51], s[16:17], v[58:59] op_sel:[0,0,1] op_sel_hi:[1,0,0]
	v_pk_fma_f32 v[50:51], v[50:51], s[16:17], v[58:59] op_sel:[0,0,1] op_sel_hi:[1,0,0] neg_lo:[0,0,1] neg_hi:[0,0,1]
	v_mov_b32_e32 v58, v56
	v_mov_b32_e32 v59, v51
	v_pk_add_f32 v[54:55], v[58:59], v[54:55]
	v_pk_fma_f32 v[58:59], v[62:63], s[6:7], v[60:61] op_sel:[0,0,1] op_sel_hi:[1,0,0]
	v_pk_fma_f32 v[60:61], v[62:63], s[6:7], v[60:61] op_sel:[0,0,1] op_sel_hi:[1,0,0] neg_lo:[0,0,1] neg_hi:[0,0,1]
	;; [unrolled: 5-line block ×3, first 2 shown]
	v_mov_b32_e32 v15, v81
	v_mov_b32_e32 v66, v62
	v_mov_b32_e32 v67, v65
	v_pk_add_f32 v[14:15], v[4:5], v[14:15]
	v_mov_b32_e32 v53, v99
	v_pk_add_f32 v[54:55], v[66:67], v[54:55]
	v_pk_fma_f32 v[66:67], v[68:69], s[8:9], v[70:71] op_sel:[0,0,1] op_sel_hi:[1,0,0]
	v_pk_fma_f32 v[68:69], v[68:69], s[8:9], v[70:71] op_sel:[0,0,1] op_sel_hi:[1,0,0] neg_lo:[0,0,1] neg_hi:[0,0,1]
	v_pk_add_f32 v[14:15], v[52:53], v[14:15]
	v_mov_b32_e32 v51, v57
	v_mov_b32_e32 v70, v66
	v_mov_b32_e32 v71, v69
	v_pk_add_f32 v[14:15], v[50:51], v[14:15]
	v_mov_b32_e32 v61, v59
	v_pk_add_f32 v[54:55], v[70:71], v[54:55]
	v_pk_fma_f32 v[70:71], v[72:73], s[12:13], v[74:75] op_sel:[0,0,1] op_sel_hi:[1,0,0]
	v_pk_fma_f32 v[72:73], v[72:73], s[12:13], v[74:75] op_sel:[0,0,1] op_sel_hi:[1,0,0] neg_lo:[0,0,1] neg_hi:[0,0,1]
	v_pk_add_f32 v[14:15], v[60:61], v[14:15]
	;; [unrolled: 9-line block ×3, first 2 shown]
	v_mov_b32_e32 v73, v71
	v_mov_b32_e32 v78, v74
	;; [unrolled: 1-line block ×3, first 2 shown]
	v_pk_add_f32 v[14:15], v[72:73], v[14:15]
	v_mov_b32_e32 v77, v75
	v_pk_add_f32 v[54:55], v[78:79], v[54:55]
	v_pk_add_f32 v[14:15], v[76:77], v[14:15]
	v_mov_b32_e32 v43, v97
	v_mov_b32_e32 v13, v1
	ds_write2_b64 v130, v[54:55], v[14:15] offset0:8 offset1:9
	v_pk_add_f32 v[14:15], v[4:5], v[42:43]
	v_mov_b32_e32 v83, v101
	v_pk_add_f32 v[0:1], v[4:5], v[12:13]
	v_mov_b32_e32 v19, v17
	;; [unrolled: 2-line block ×14, first 2 shown]
	v_pk_add_f32 v[14:15], v[94:95], v[14:15]
	v_pk_add_f32 v[0:1], v[10:11], v[0:1]
	ds_write2_b64 v130, v[14:15], v[0:1] offset0:10 offset1:11
	v_accvgpr_read_b32 v0, a4
	v_accvgpr_read_b32 v1, a5
	ds_write2_b64 v130, v[48:49], v[0:1] offset0:12 offset1:13
	v_accvgpr_read_b32 v0, a2
	v_accvgpr_read_b32 v91, a1
	;; [unrolled: 1-line block ×3, first 2 shown]
	ds_write2_b64 v130, v[0:1], v[240:241] offset0:14 offset1:15
	ds_write_b64 v130, v[2:3] offset:128
.LBB0_19:
	s_or_b64 exec, exec, s[22:23]
	s_movk_i32 s2, 0xf1
	v_mul_lo_u16_sdwa v0, v36, s2 dst_sel:DWORD dst_unused:UNUSED_PAD src0_sel:BYTE_0 src1_sel:DWORD
	s_mov_b32 s2, 0xf0f1
	v_accvgpr_read_b32 v82, a0
	v_lshrrev_b16_e32 v35, 12, v0
	v_mul_u32_u24_sdwa v59, v82, s2 dst_sel:DWORD dst_unused:UNUSED_PAD src0_sel:WORD_0 src1_sel:DWORD
	v_mul_lo_u16_e32 v0, 17, v35
	v_lshrrev_b32_e32 v57, 20, v59
	v_mul_u32_u24_sdwa v75, v44, s2 dst_sel:DWORD dst_unused:UNUSED_PAD src0_sel:WORD_0 src1_sel:DWORD
	v_sub_u16_e32 v56, v36, v0
	v_mul_lo_u16_e32 v0, 17, v57
	v_lshrrev_b32_e32 v60, 20, v75
	v_sub_u16_e32 v58, v82, v0
	v_mul_lo_u16_e32 v0, 17, v60
	v_sub_u16_e32 v61, v44, v0
	v_mul_u32_u24_e32 v8, 3, v58
	v_mul_u32_u24_e32 v0, 3, v61
	v_mov_b32_e32 v74, 3
	v_lshlrev_b32_e32 v9, 3, v0
	v_lshlrev_b32_e32 v12, 3, v8
	s_waitcnt lgkmcnt(0)
	s_barrier
	global_load_dwordx2 v[0:1], v9, s[4:5] offset:16
	global_load_dwordx4 v[4:7], v9, s[4:5]
	global_load_dwordx2 v[32:33], v12, s[4:5] offset:16
	s_nop 0
	global_load_dwordx4 v[8:11], v12, s[4:5]
	v_mul_u32_u24_sdwa v12, v56, v74 dst_sel:DWORD dst_unused:UNUSED_PAD src0_sel:BYTE_0 src1_sel:DWORD
	v_lshlrev_b32_e32 v16, 3, v12
	global_load_dwordx4 v[12:15], v16, s[4:5]
	global_load_dwordx2 v[40:41], v16, s[4:5] offset:16
	v_add_u32_e32 v77, 0xe00, v46
	v_add_u32_e32 v34, 0x1800, v46
	;; [unrolled: 1-line block ×3, first 2 shown]
	ds_read2_b64 v[16:19], v47 offset0:38 offset1:208
	ds_read_b64 v[42:43], v45
	ds_read_b64 v[50:51], v37
	ds_read_b64 v[52:53], v46 offset:14960
	ds_read_b64 v[54:55], v46
	ds_read2_b64 v[20:23], v77 offset0:62 offset1:232
	ds_read2_b64 v[24:27], v34 offset0:82 offset1:252
	;; [unrolled: 1-line block ×3, first 2 shown]
	v_mul_u32_u24_e32 v35, 0x220, v35
	v_mul_u32_u24_e32 v57, 0x220, v57
	;; [unrolled: 1-line block ×3, first 2 shown]
	v_lshlrev_b32_sdwa v56, v74, v56 dst_sel:DWORD dst_unused:UNUSED_PAD src0_sel:DWORD src1_sel:BYTE_0
	v_lshlrev_b32_e32 v58, 3, v58
	v_lshlrev_b32_e32 v61, 3, v61
	v_add3_u32 v35, 0, v35, v56
	v_add3_u32 v79, 0, v57, v58
	v_add3_u32 v80, 0, v60, v61
	s_waitcnt lgkmcnt(0)
	s_barrier
	v_add_u32_e32 v76, 0x1fe, v36
	s_mov_b32 s6, 0x5040100
	v_cmp_gt_u32_e32 vcc, 34, v36
	s_waitcnt vmcnt(5)
	v_pk_mul_f32 v[60:61], v[52:53], v[0:1] op_sel:[0,1]
	s_waitcnt vmcnt(4)
	v_pk_mul_f32 v[56:57], v[24:25], v[4:5] op_sel:[0,1]
	v_mov_b32_e32 v58, v7
	s_waitcnt vmcnt(2)
	v_pk_mul_f32 v[62:63], v[8:9], v[22:23] op_sel:[0,1]
	v_pk_mul_f32 v[64:65], v[10:11], v[16:17] op_sel:[0,1]
	;; [unrolled: 1-line block ×3, first 2 shown]
	s_waitcnt vmcnt(1)
	v_pk_mul_f32 v[68:69], v[12:13], v[20:21] op_sel:[0,1]
	v_pk_mul_f32 v[70:71], v[14:15], v[26:27] op_sel:[0,1]
	v_pk_fma_f32 v[72:73], v[24:25], v[4:5], v[56:57] op_sel:[0,0,1] op_sel_hi:[1,1,0]
	v_pk_fma_f32 v[4:5], v[24:25], v[4:5], v[56:57] op_sel:[0,0,1] op_sel_hi:[1,0,0] neg_lo:[0,0,1] neg_hi:[0,0,1]
	v_pk_mul_f32 v[24:25], v[18:19], v[58:59] op_sel_hi:[1,0]
	v_pk_fma_f32 v[56:57], v[52:53], v[0:1], v[60:61] op_sel:[0,0,1] op_sel_hi:[1,1,0]
	v_pk_fma_f32 v[0:1], v[52:53], v[0:1], v[60:61] op_sel:[0,0,1] op_sel_hi:[1,0,0] neg_lo:[0,0,1] neg_hi:[0,0,1]
	v_pk_fma_f32 v[52:53], v[8:9], v[22:23], v[62:63] op_sel:[0,0,1] op_sel_hi:[1,1,0]
	v_pk_fma_f32 v[8:9], v[8:9], v[22:23], v[62:63] op_sel:[0,0,1] op_sel_hi:[1,0,0] neg_lo:[1,0,0] neg_hi:[1,0,0]
	;; [unrolled: 2-line block ×6, first 2 shown]
	v_mov_b32_e32 v73, v5
	v_pk_fma_f32 v[4:5], v[18:19], v[6:7], v[24:25] op_sel:[0,0,1] op_sel_hi:[1,1,0]
	v_pk_fma_f32 v[6:7], v[18:19], v[6:7], v[24:25] op_sel:[0,0,1] op_sel_hi:[1,0,0] neg_lo:[0,0,1] neg_hi:[0,0,1]
	v_mov_b32_e32 v23, v11
	v_mov_b32_e32 v21, v15
	s_waitcnt vmcnt(0)
	v_pk_mul_f32 v[14:15], v[40:41], v[28:29] op_sel:[0,1]
	v_mov_b32_e32 v5, v7
	v_pk_add_f32 v[6:7], v[50:51], v[22:23] neg_lo:[0,1] neg_hi:[0,1]
	v_pk_fma_f32 v[22:23], v[40:41], v[28:29], v[14:15] op_sel:[0,0,1] op_sel_hi:[1,1,0]
	v_pk_fma_f32 v[14:15], v[40:41], v[28:29], v[14:15] op_sel:[0,0,1] op_sel_hi:[1,0,0] neg_lo:[1,0,0] neg_hi:[1,0,0]
	v_mov_b32_e32 v33, v13
	v_mov_b32_e32 v23, v15
	v_pk_add_f32 v[14:15], v[54:55], v[20:21] neg_lo:[0,1] neg_hi:[0,1]
	v_pk_add_f32 v[22:23], v[32:33], v[22:23] neg_lo:[0,1] neg_hi:[0,1]
	v_pk_fma_f32 v[20:21], v[54:55], 2.0, v[14:15] op_sel_hi:[1,0,1] neg_lo:[0,0,1] neg_hi:[0,0,1]
	v_pk_fma_f32 v[24:25], v[32:33], 2.0, v[22:23] op_sel_hi:[1,0,1] neg_lo:[0,0,1] neg_hi:[0,0,1]
	v_pk_add_f32 v[26:27], v[14:15], v[22:23] op_sel:[0,1] op_sel_hi:[1,0]
	v_pk_add_f32 v[22:23], v[14:15], v[22:23] op_sel:[0,1] op_sel_hi:[1,0] neg_lo:[0,1] neg_hi:[0,1]
	v_mov_b32_e32 v53, v9
	v_mov_b32_e32 v17, v31
	v_pk_add_f32 v[24:25], v[20:21], v[24:25] neg_lo:[0,1] neg_hi:[0,1]
	v_mov_b32_e32 v27, v23
	v_pk_add_f32 v[8:9], v[52:53], v[16:17] neg_lo:[0,1] neg_hi:[0,1]
	v_pk_fma_f32 v[20:21], v[20:21], 2.0, v[24:25] op_sel_hi:[1,0,1] neg_lo:[0,0,1] neg_hi:[0,0,1]
	v_pk_fma_f32 v[14:15], v[14:15], 2.0, v[26:27] op_sel_hi:[1,0,1] neg_lo:[0,0,1] neg_hi:[0,0,1]
	;; [unrolled: 1-line block ×4, first 2 shown]
	ds_write2_b64 v35, v[20:21], v[14:15] offset1:17
	ds_write2_b64 v35, v[24:25], v[26:27] offset0:34 offset1:51
	v_pk_add_f32 v[14:15], v[6:7], v[8:9] op_sel:[0,1] op_sel_hi:[1,0]
	v_pk_add_f32 v[8:9], v[6:7], v[8:9] op_sel:[0,1] op_sel_hi:[1,0] neg_lo:[0,1] neg_hi:[0,1]
	v_mov_b32_e32 v57, v1
	v_pk_add_f32 v[16:17], v[12:13], v[16:17] neg_lo:[0,1] neg_hi:[0,1]
	v_mov_b32_e32 v15, v9
	v_pk_add_f32 v[0:1], v[72:73], v[56:57] neg_lo:[0,1] neg_hi:[0,1]
	v_pk_add_f32 v[4:5], v[42:43], v[4:5] neg_lo:[0,1] neg_hi:[0,1]
	v_pk_fma_f32 v[12:13], v[12:13], 2.0, v[16:17] op_sel_hi:[1,0,1] neg_lo:[0,0,1] neg_hi:[0,0,1]
	v_pk_fma_f32 v[6:7], v[6:7], 2.0, v[14:15] op_sel_hi:[1,0,1] neg_lo:[0,0,1] neg_hi:[0,0,1]
	;; [unrolled: 1-line block ×4, first 2 shown]
	ds_write2_b64 v79, v[12:13], v[6:7] offset1:17
	ds_write2_b64 v79, v[16:17], v[14:15] offset0:34 offset1:51
	v_pk_add_f32 v[6:7], v[4:5], v[0:1] op_sel:[0,1] op_sel_hi:[1,0]
	v_pk_add_f32 v[0:1], v[4:5], v[0:1] op_sel:[0,1] op_sel_hi:[1,0] neg_lo:[0,1] neg_hi:[0,1]
	v_pk_add_f32 v[10:11], v[18:19], v[10:11] neg_lo:[0,1] neg_hi:[0,1]
	v_mov_b32_e32 v7, v1
	v_pk_fma_f32 v[18:19], v[18:19], 2.0, v[10:11] op_sel_hi:[1,0,1] neg_lo:[0,0,1] neg_hi:[0,0,1]
	v_pk_fma_f32 v[0:1], v[4:5], 2.0, v[6:7] op_sel_hi:[1,0,1] neg_lo:[0,0,1] neg_hi:[0,0,1]
	ds_write2_b64 v80, v[18:19], v[0:1] offset1:17
	ds_write2_b64 v80, v[10:11], v[6:7] offset0:34 offset1:51
	v_mul_u32_u24_sdwa v0, v76, s2 dst_sel:DWORD dst_unused:UNUSED_PAD src0_sel:WORD_0 src1_sel:DWORD
	v_lshrrev_b32_e32 v35, 22, v0
	v_mul_lo_u16_e32 v0, 0x44, v35
	v_sub_u16_e32 v60, v76, v0
	v_lshlrev_b32_e32 v0, 4, v60
	s_waitcnt lgkmcnt(0)
	s_barrier
	global_load_dwordx4 v[4:7], v0, s[4:5] offset:408
	v_lshrrev_b32_e32 v61, 22, v75
	v_mul_lo_u16_e32 v0, 0x44, v61
	v_sub_u16_e32 v62, v44, v0
	v_lshlrev_b32_e32 v0, 4, v62
	v_lshrrev_b32_e32 v63, 22, v59
	global_load_dwordx4 v[8:11], v0, s[4:5] offset:408
	v_mul_lo_u16_e32 v0, 0x44, v63
	v_sub_u16_e32 v64, v82, v0
	v_lshlrev_b32_e32 v0, 4, v64
	s_movk_i32 s2, 0x79
	global_load_dwordx4 v[12:15], v0, s[4:5] offset:408
	v_mul_lo_u16_sdwa v0, v36, s2 dst_sel:DWORD dst_unused:UNUSED_PAD src0_sel:BYTE_0 src1_sel:DWORD
	v_lshrrev_b16_e32 v65, 13, v0
	v_mul_lo_u16_e32 v0, 0x44, v65
	v_sub_u16_e32 v66, v36, v0
	v_mov_b32_e32 v0, 4
	v_lshlrev_b32_sdwa v0, v0, v66 dst_sel:DWORD dst_unused:UNUSED_PAD src0_sel:DWORD src1_sel:BYTE_0
	global_load_dwordx4 v[16:19], v0, s[4:5] offset:408
	ds_read2_b64 v[20:23], v77 offset0:62 offset1:232
	ds_read2_b64 v[24:27], v47 offset0:38 offset1:208
	ds_read2_b64 v[40:43], v34 offset0:82 offset1:252
	ds_read2_b64 v[50:53], v78 offset0:58 offset1:228
	ds_read_b64 v[0:1], v46 offset:14960
	ds_read_b64 v[32:33], v45
	ds_read_b64 v[44:45], v37
	;; [unrolled: 1-line block ×3, first 2 shown]
	s_waitcnt lgkmcnt(6)
	v_mov_b32_e32 v28, v25
	s_waitcnt lgkmcnt(3)
	v_mov_b32_e32 v30, v1
	s_mov_b32 s2, 0x3f5db3d7
	s_waitcnt lgkmcnt(0)
	s_barrier
	s_waitcnt vmcnt(3)
	v_pk_mul_f32 v[56:57], v[24:25], v[4:5] op_sel:[0,1] op_sel_hi:[0,0]
	v_mov_b32_e32 v58, v7
	v_mov_b32_e32 v59, v6
	v_pk_fma_f32 v[28:29], v[28:29], v[4:5], v[56:57] neg_lo:[0,0,1] neg_hi:[0,0,1]
	v_pk_fma_f32 v[4:5], v[24:25], v[4:5], v[56:57] op_sel:[1,0,0]
	v_pk_mul_f32 v[24:25], v[0:1], v[58:59] op_sel_hi:[0,1]
	v_pk_fma_f32 v[30:31], v[30:31], v[6:7], v[24:25] neg_lo:[0,0,1] neg_hi:[0,0,1]
	v_pk_fma_f32 v[0:1], v[0:1], v[6:7], v[24:25] op_sel:[1,0,0]
	v_mov_b32_e32 v29, v5
	v_mov_b32_e32 v4, v5
	v_mov_b32_e32 v5, v28
	v_mov_b32_e32 v31, v1
	v_mov_b32_e32 v0, v1
	v_mov_b32_e32 v1, v30
	v_pk_add_f32 v[6:7], v[4:5], v[0:1]
	v_pk_add_f32 v[24:25], v[28:29], v[30:31] neg_lo:[0,1] neg_hi:[0,1]
	v_pk_fma_f32 v[6:7], v[6:7], 0.5, v[20:21] op_sel_hi:[1,0,1] neg_lo:[1,0,0] neg_hi:[1,0,0]
	v_pk_add_f32 v[4:5], v[20:21], v[4:5]
	v_pk_fma_f32 v[30:31], v[24:25], s[2:3], v[6:7] op_sel_hi:[1,0,1] neg_lo:[1,0,0] neg_hi:[1,0,0]
	v_pk_fma_f32 v[28:29], v[24:25], s[2:3], v[6:7] op_sel_hi:[1,0,1]
	v_mul_u32_u24_e32 v6, 0x660, v65
	v_lshlrev_b32_sdwa v7, v74, v66 dst_sel:DWORD dst_unused:UNUSED_PAD src0_sel:DWORD src1_sel:BYTE_0
	s_movk_i32 s3, 0x660
	v_add3_u32 v47, 0, v6, v7
	v_perm_b32 v6, v61, v63, s6
	v_pk_mul_lo_u16 v6, v6, s3 op_sel_hi:[1,0]
	v_lshlrev_b32_e32 v24, 3, v64
	v_and_b32_e32 v7, 0xffe0, v6
	v_add3_u32 v56, 0, v7, v24
	v_lshrrev_b32_e32 v6, 16, v6
	v_lshlrev_b32_e32 v7, 3, v62
	v_add3_u32 v57, 0, v6, v7
	s_waitcnt vmcnt(2)
	v_pk_mul_f32 v[6:7], v[8:9], v[42:43] op_sel:[0,1]
	v_pk_add_f32 v[0:1], v[4:5], v[0:1]
	v_pk_fma_f32 v[24:25], v[8:9], v[42:43], v[6:7] op_sel:[0,0,1] op_sel_hi:[1,1,0]
	v_pk_fma_f32 v[6:7], v[8:9], v[42:43], v[6:7] op_sel:[0,0,1] op_sel_hi:[1,0,0] neg_lo:[1,0,0] neg_hi:[1,0,0]
	v_mov_b32_e32 v4, v30
	v_mov_b32_e32 v6, v11
	;; [unrolled: 1-line block ×3, first 2 shown]
	v_pk_mul_f32 v[6:7], v[52:53], v[6:7] op_sel_hi:[1,0]
	v_mov_b32_e32 v5, v29
	v_pk_fma_f32 v[8:9], v[52:53], v[10:11], v[6:7] op_sel:[0,0,1] op_sel_hi:[1,1,0]
	v_pk_fma_f32 v[6:7], v[52:53], v[10:11], v[6:7] op_sel:[0,0,1] op_sel_hi:[1,0,0] neg_lo:[0,0,1] neg_hi:[0,0,1]
	s_waitcnt vmcnt(1)
	v_pk_mul_f32 v[10:11], v[12:13], v[40:41] op_sel:[0,1]
	v_mov_b32_e32 v9, v7
	v_pk_fma_f32 v[42:43], v[12:13], v[40:41], v[10:11] op_sel:[0,0,1] op_sel_hi:[1,1,0]
	v_pk_fma_f32 v[10:11], v[12:13], v[40:41], v[10:11] op_sel:[0,0,1] op_sel_hi:[1,0,0] neg_lo:[1,0,0] neg_hi:[1,0,0]
	v_pk_add_f32 v[6:7], v[32:33], v[24:25]
	v_mov_b32_e32 v43, v11
	v_pk_mul_f32 v[10:11], v[14:15], v[50:51] op_sel:[0,1]
	v_pk_add_f32 v[6:7], v[6:7], v[8:9]
	v_pk_fma_f32 v[12:13], v[14:15], v[50:51], v[10:11] op_sel:[0,0,1] op_sel_hi:[1,1,0]
	v_pk_fma_f32 v[10:11], v[14:15], v[50:51], v[10:11] op_sel:[0,0,1] op_sel_hi:[1,0,0] neg_lo:[1,0,0] neg_hi:[1,0,0]
	s_waitcnt vmcnt(0)
	v_pk_mul_f32 v[14:15], v[16:17], v[22:23] op_sel:[0,1]
	v_mov_b32_e32 v13, v11
	v_pk_fma_f32 v[40:41], v[16:17], v[22:23], v[14:15] op_sel:[0,0,1] op_sel_hi:[1,1,0]
	v_pk_fma_f32 v[14:15], v[16:17], v[22:23], v[14:15] op_sel:[0,0,1] op_sel_hi:[1,0,0] neg_lo:[1,0,0] neg_hi:[1,0,0]
	v_pk_add_f32 v[10:11], v[44:45], v[42:43]
	v_mov_b32_e32 v41, v15
	v_pk_mul_f32 v[14:15], v[18:19], v[26:27] op_sel:[0,1]
	v_pk_add_f32 v[10:11], v[10:11], v[12:13]
	v_pk_fma_f32 v[16:17], v[18:19], v[26:27], v[14:15] op_sel:[0,0,1] op_sel_hi:[1,1,0]
	v_pk_fma_f32 v[14:15], v[18:19], v[26:27], v[14:15] op_sel:[0,0,1] op_sel_hi:[1,0,0] neg_lo:[1,0,0] neg_hi:[1,0,0]
	s_nop 0
	v_mov_b32_e32 v17, v15
	v_pk_add_f32 v[14:15], v[54:55], v[40:41]
	v_pk_add_f32 v[18:19], v[40:41], v[16:17]
	;; [unrolled: 1-line block ×3, first 2 shown]
	v_pk_add_f32 v[16:17], v[40:41], v[16:17] neg_lo:[0,1] neg_hi:[0,1]
	v_pk_fma_f32 v[18:19], v[18:19], 0.5, v[54:55] op_sel_hi:[1,0,1] neg_lo:[1,0,0] neg_hi:[1,0,0]
	v_pk_mul_f32 v[16:17], v[16:17], s[2:3] op_sel_hi:[1,0]
	v_add_u32_e32 v40, 0x3200, v46
	v_pk_add_f32 v[22:23], v[18:19], v[16:17] op_sel:[0,1] op_sel_hi:[1,0] neg_lo:[0,1] neg_hi:[0,1]
	v_pk_add_f32 v[16:17], v[18:19], v[16:17] op_sel:[0,1] op_sel_hi:[1,0]
	v_mov_b32_e32 v18, v22
	v_mov_b32_e32 v19, v17
	ds_write2_b64 v47, v[14:15], v[18:19] offset1:68
	v_pk_add_f32 v[14:15], v[42:43], v[12:13]
	v_pk_add_f32 v[12:13], v[42:43], v[12:13] neg_lo:[0,1] neg_hi:[0,1]
	v_mov_b32_e32 v17, v23
	v_pk_fma_f32 v[14:15], v[14:15], 0.5, v[44:45] op_sel_hi:[1,0,1] neg_lo:[1,0,0] neg_hi:[1,0,0]
	v_pk_mul_f32 v[12:13], v[12:13], s[2:3] op_sel_hi:[1,0]
	ds_write_b64 v47, v[16:17] offset:1088
	v_pk_add_f32 v[16:17], v[14:15], v[12:13] op_sel:[0,1] op_sel_hi:[1,0] neg_lo:[0,1] neg_hi:[0,1]
	v_pk_add_f32 v[12:13], v[14:15], v[12:13] op_sel:[0,1] op_sel_hi:[1,0]
	v_mov_b32_e32 v14, v16
	v_mov_b32_e32 v15, v13
	ds_write2_b64 v56, v[10:11], v[14:15] offset1:68
	v_pk_add_f32 v[10:11], v[24:25], v[8:9]
	v_pk_add_f32 v[8:9], v[24:25], v[8:9] neg_lo:[0,1] neg_hi:[0,1]
	v_mov_b32_e32 v13, v17
	v_pk_fma_f32 v[10:11], v[10:11], 0.5, v[32:33] op_sel_hi:[1,0,1] neg_lo:[1,0,0] neg_hi:[1,0,0]
	v_pk_mul_f32 v[8:9], v[8:9], s[2:3] op_sel_hi:[1,0]
	ds_write_b64 v56, v[12:13] offset:1088
	v_pk_add_f32 v[12:13], v[10:11], v[8:9] op_sel:[0,1] op_sel_hi:[1,0] neg_lo:[0,1] neg_hi:[0,1]
	v_pk_add_f32 v[8:9], v[10:11], v[8:9] op_sel:[0,1] op_sel_hi:[1,0]
	v_mov_b32_e32 v10, v12
	v_mov_b32_e32 v11, v9
	ds_write2_b64 v57, v[6:7], v[10:11] offset1:68
	v_mul_u32_u24_e32 v6, 0x660, v35
	v_lshlrev_b32_e32 v7, 3, v60
	v_mov_b32_e32 v9, v13
	v_add3_u32 v6, 0, v6, v7
	ds_write_b64 v57, v[8:9] offset:1088
	ds_write2_b64 v6, v[0:1], v[4:5] offset1:68
	v_mov_b32_e32 v0, v28
	v_mov_b32_e32 v1, v31
	ds_write_b64 v6, v[0:1] offset:1088
	s_waitcnt lgkmcnt(0)
	s_barrier
	ds_read2_b64 v[8:11], v46 offset1:204
	ds_read2_b64 v[24:27], v91 offset0:24 offset1:228
	ds_read2_b64 v[12:15], v34 offset0:48 offset1:252
	v_add_u32_e32 v35, 0x2600, v46
	ds_read2_b64 v[16:19], v35 offset0:8 offset1:212
	ds_read2_b64 v[20:23], v40 offset0:32 offset1:236
                                        ; implicit-def: $vgpr32
                                        ; implicit-def: $vgpr6
	s_and_saveexec_b64 s[2:3], vcc
	s_cbranch_execz .LBB0_21
; %bb.20:
	v_add_u32_e32 v0, 0xb00, v46
	ds_read2_b64 v[42:45], v0 offset0:22 offset1:226
	ds_read2_b64 v[48:51], v34 offset0:14 offset1:218
	v_add_u32_e32 v0, 0x2400, v46
	ds_read2_b64 v[0:3], v0 offset0:38 offset1:242
	v_add_u32_e32 v4, 0x3100, v46
	ds_read2_b64 v[4:7], v4 offset0:30 offset1:234
	ds_read_b64 v[30:31], v37
	ds_read_b64 v[32:33], v46 offset:16048
	s_waitcnt lgkmcnt(4)
	v_accvgpr_write_b32 a2, v50
	v_accvgpr_write_b32 a4, v48
	s_waitcnt lgkmcnt(3)
	v_mov_b64_e32 v[240:241], v[0:1]
	v_accvgpr_write_b32 a3, v51
	v_accvgpr_write_b32 a5, v49
	v_mov_b64_e32 v[48:49], v[44:45]
	s_waitcnt lgkmcnt(1)
	v_mov_b32_e32 v29, v31
	v_mov_b32_e32 v28, v42
	;; [unrolled: 1-line block ×3, first 2 shown]
.LBB0_21:
	s_or_b64 exec, exec, s[2:3]
	v_mul_u32_u24_e32 v0, 9, v36
	v_lshlrev_b32_e32 v37, 3, v0
	global_load_dwordx4 v[42:45], v37, s[4:5] offset:1496
	global_load_dwordx4 v[50:53], v37, s[4:5] offset:1512
	;; [unrolled: 1-line block ×4, first 2 shown]
	global_load_dwordx2 v[0:1], v37, s[4:5] offset:1560
	s_mov_b32 s2, 0x3e9e377a
	s_mov_b32 s3, 0x3f167918
	s_mov_b32 s7, 0x3f737871
	s_mov_b32 s14, s7
	s_mov_b32 s16, s3
	s_mov_b32 s12, 0x3f4f1bbd
	s_mov_b32 s8, s3
	s_mov_b32 s9, s12
	s_mov_b32 s13, s3
	s_waitcnt lgkmcnt(0)
	s_barrier
	s_mov_b32 s10, s7
	s_mov_b32 s11, s2
	;; [unrolled: 1-line block ×3, first 2 shown]
	s_waitcnt vmcnt(4)
	v_pk_mul_f32 v[62:63], v[42:43], v[10:11] op_sel:[0,1]
	v_pk_mul_f32 v[64:65], v[44:45], v[24:25] op_sel:[0,1]
	s_waitcnt vmcnt(3)
	v_pk_mul_f32 v[66:67], v[50:51], v[26:27] op_sel:[0,1]
	v_pk_mul_f32 v[68:69], v[52:53], v[12:13] op_sel:[0,1]
	;; [unrolled: 3-line block ×4, first 2 shown]
	s_waitcnt vmcnt(0)
	v_pk_mul_f32 v[78:79], v[22:23], v[0:1] op_sel:[0,1]
	v_pk_fma_f32 v[80:81], v[42:43], v[10:11], v[62:63] op_sel:[0,0,1] op_sel_hi:[1,0,0]
	v_pk_fma_f32 v[10:11], v[42:43], v[10:11], v[62:63] op_sel:[0,0,1] op_sel_hi:[1,0,0] neg_lo:[1,0,0] neg_hi:[1,0,0]
	v_pk_fma_f32 v[42:43], v[44:45], v[24:25], v[64:65] op_sel:[0,0,1] op_sel_hi:[1,1,0]
	v_pk_fma_f32 v[24:25], v[44:45], v[24:25], v[64:65] op_sel:[0,0,1] op_sel_hi:[1,0,0] neg_lo:[1,0,0] neg_hi:[1,0,0]
	;; [unrolled: 2-line block ×9, first 2 shown]
	v_mov_b32_e32 v51, v13
	v_mov_b32_e32 v55, v17
	;; [unrolled: 1-line block ×8, first 2 shown]
	v_pk_add_f32 v[26:27], v[12:13], v[16:17] neg_lo:[0,1] neg_hi:[0,1]
	v_mov_b32_e32 v53, v15
	v_mov_b32_e32 v57, v19
	;; [unrolled: 1-line block ×7, first 2 shown]
	v_pk_add_f32 v[20:21], v[52:53], v[56:57]
	v_pk_add_f32 v[24:25], v[52:53], v[56:57] neg_lo:[0,1] neg_hi:[0,1]
	v_pk_add_f32 v[12:13], v[16:17], v[12:13] neg_lo:[0,1] neg_hi:[0,1]
	v_pk_add_f32 v[26:27], v[26:27], v[10:11]
	v_mov_b32_e32 v18, v15
	v_pk_add_f32 v[22:23], v[44:45], v[60:61] neg_lo:[0,1] neg_hi:[0,1]
	v_pk_add_f32 v[16:17], v[80:81], v[44:45]
	v_fma_f32 v41, -0.5, v20, v80
	v_mov_b32_e32 v20, v13
	v_mov_b32_e32 v27, v25
	v_pk_add_f32 v[62:63], v[44:45], v[60:61]
	v_pk_add_f32 v[44:45], v[0:1], v[18:19] neg_lo:[0,1] neg_hi:[0,1]
	v_pk_add_f32 v[16:17], v[16:17], v[52:53]
	v_fma_f32 v47, -0.5, v21, v11
	v_fmamk_f32 v52, v23, 0xbf737871, v41
	v_pk_add_f32 v[12:13], v[12:13], v[20:21]
	v_pk_mul_f32 v[20:21], v[26:27], s[2:3]
	v_mov_b32_e32 v37, v80
	v_fmac_f32_e32 v41, 0x3f737871, v23
	v_fmamk_f32 v53, v22, 0x3f737871, v47
	v_mov_b32_e32 v13, v23
	v_sub_f32_e32 v23, v52, v21
	v_mov_b32_e32 v52, v45
	v_fmac_f32_e32 v37, -0.5, v62
	v_pk_add_f32 v[44:45], v[44:45], v[52:53]
	v_fmamk_f32 v10, v25, 0x3f737871, v37
	v_fmac_f32_e32 v37, 0xbf737871, v25
	v_pk_mul_f32 v[12:13], v[12:13], s[2:3]
	v_mov_b32_e32 v45, v24
	v_sub_f32_e32 v25, v10, v13
	v_add_f32_e32 v13, v13, v37
	v_pk_mul_f32 v[44:45], v[44:45], s[2:3]
	v_add_f32_e32 v26, v12, v25
	v_add_f32_e32 v12, v12, v13
	;; [unrolled: 1-line block ×3, first 2 shown]
	v_fmac_f32_e32 v47, 0xbf737871, v22
	v_add_f32_e32 v52, v44, v13
	v_sub_f32_e32 v13, v47, v45
	v_fmac_f32_e32 v11, -0.5, v63
	v_pk_add_f32 v[0:1], v[18:19], v[0:1] neg_lo:[0,1] neg_hi:[0,1]
	v_pk_add_f32 v[16:17], v[16:17], v[56:57]
	v_add_f32_e32 v44, v44, v13
	v_fmamk_f32 v13, v24, 0xbf737871, v11
	v_mov_b32_e32 v18, v1
	v_fmac_f32_e32 v11, 0x3f737871, v24
	v_pk_add_f32 v[24:25], v[50:51], v[54:55]
	v_pk_add_f32 v[56:57], v[42:43], v[58:59] neg_lo:[0,1] neg_hi:[0,1]
	v_pk_add_f32 v[16:17], v[16:17], v[60:61]
	v_pk_add_f32 v[0:1], v[0:1], v[18:19]
	v_pk_fma_f32 v[24:25], v[24:25], 0.5, v[8:9] op_sel_hi:[1,0,1] neg_lo:[1,0,0] neg_hi:[1,0,0]
	v_pk_mul_f32 v[60:61], v[56:57], s[14:15] op_sel_hi:[1,0]
	v_pk_add_f32 v[62:63], v[50:51], v[54:55] neg_lo:[0,1] neg_hi:[0,1]
	v_pk_add_f32 v[66:67], v[42:43], v[50:51] neg_lo:[0,1] neg_hi:[0,1]
	;; [unrolled: 1-line block ×3, first 2 shown]
	v_pk_add_f32 v[14:15], v[8:9], v[42:43]
	v_mov_b32_e32 v1, v22
	v_pk_mul_f32 v[64:65], v[62:63], s[16:17] op_sel_hi:[1,0]
	v_pk_add_f32 v[66:67], v[66:67], v[68:69]
	v_pk_add_f32 v[68:69], v[24:25], v[60:61] op_sel:[0,1] op_sel_hi:[1,0] neg_lo:[0,1] neg_hi:[0,1]
	v_pk_add_f32 v[24:25], v[24:25], v[60:61] op_sel:[0,1] op_sel_hi:[1,0]
	v_pk_add_f32 v[14:15], v[14:15], v[50:51]
	v_add_f32_e32 v10, v20, v23
	v_pk_mul_f32 v[0:1], v[0:1], s[2:3]
	v_pk_add_f32 v[24:25], v[24:25], v[64:65] op_sel:[0,1] op_sel_hi:[1,0]
	v_pk_add_f32 v[60:61], v[68:69], v[64:65] op_sel:[0,1] op_sel_hi:[1,0] neg_lo:[0,1] neg_hi:[0,1]
	v_pk_mul_f32 v[52:53], v[52:53], s[8:9] op_sel_hi:[0,1]
	v_pk_add_f32 v[14:15], v[14:15], v[54:55]
	v_add_f32_e32 v13, v1, v13
	v_sub_f32_e32 v1, v11, v1
	v_mov_b32_e32 v64, v60
	v_mov_b32_e32 v65, v25
	v_pk_fma_f32 v[68:69], v[10:11], s[12:13], v[52:53] neg_lo:[0,0,1] neg_hi:[0,0,1]
	v_pk_fma_f32 v[10:11], v[10:11], s[12:13], v[52:53] op_sel_hi:[0,1,1]
	v_pk_add_f32 v[14:15], v[14:15], v[58:59]
	v_pk_fma_f32 v[64:65], v[66:67], s[2:3], v[64:65] op_sel_hi:[1,0,1]
	v_mov_b32_e32 v69, v11
	v_pk_add_f32 v[22:23], v[14:15], v[16:17]
	v_pk_add_f32 v[10:11], v[64:65], v[68:69]
	v_add_f32_e32 v18, v0, v13
	ds_write2_b64 v46, v[22:23], v[10:11] offset1:204
	v_pk_add_f32 v[10:11], v[42:43], v[58:59]
	v_pk_add_f32 v[22:23], v[54:55], v[58:59] neg_lo:[0,1] neg_hi:[0,1]
	v_pk_fma_f32 v[8:9], v[10:11], 0.5, v[8:9] op_sel_hi:[1,0,1] neg_lo:[1,0,0] neg_hi:[1,0,0]
	v_pk_add_f32 v[10:11], v[50:51], v[42:43] neg_lo:[0,1] neg_hi:[0,1]
	v_pk_mul_f32 v[18:19], v[18:19], s[10:11] op_sel_hi:[0,1]
	v_pk_add_f32 v[10:11], v[10:11], v[22:23]
	v_pk_fma_f32 v[22:23], v[26:27], s[6:7], v[18:19] neg_lo:[0,0,1] neg_hi:[0,0,1]
	v_pk_fma_f32 v[18:19], v[26:27], s[6:7], v[18:19] op_sel_hi:[0,1,1]
	v_mov_b32_e32 v23, v19
	v_pk_mul_f32 v[18:19], v[62:63], s[14:15] op_sel_hi:[1,0]
	v_pk_mul_f32 v[26:27], v[56:57], s[16:17] op_sel_hi:[1,0]
	v_pk_add_f32 v[42:43], v[8:9], v[18:19] op_sel:[0,1] op_sel_hi:[1,0]
	v_pk_add_f32 v[8:9], v[8:9], v[18:19] op_sel:[0,1] op_sel_hi:[1,0] neg_lo:[0,1] neg_hi:[0,1]
	v_add_f32_e32 v0, v0, v1
	v_pk_add_f32 v[8:9], v[8:9], v[26:27] op_sel:[0,1] op_sel_hi:[1,0]
	v_pk_add_f32 v[18:19], v[42:43], v[26:27] op_sel:[0,1] op_sel_hi:[1,0] neg_lo:[0,1] neg_hi:[0,1]
	v_mov_b32_e32 v27, v9
	v_mov_b32_e32 v26, v18
	s_mov_b32 s14, 0xbe9e377a
	s_mov_b32 s15, s7
	v_pk_mul_f32 v[0:1], v[0:1], s[10:11] op_sel_hi:[0,1]
	v_mov_b32_e32 v9, v19
	v_pk_fma_f32 v[26:27], v[10:11], s[2:3], v[26:27] op_sel_hi:[1,0,1]
	v_pk_fma_f32 v[0:1], v[12:13], s[14:15], v[0:1] op_sel_hi:[0,1,1] neg_lo:[0,0,1] neg_hi:[0,0,1]
	v_pk_fma_f32 v[8:9], v[10:11], s[2:3], v[8:9] op_sel_hi:[1,0,1]
	v_add_f32_e32 v21, v21, v41
	v_pk_add_f32 v[42:43], v[26:27], v[22:23]
	v_pk_add_f32 v[10:11], v[8:9], v[0:1]
	v_add_u32_e32 v12, 0xc00, v46
	v_add_f32_e32 v20, v20, v21
	ds_write2_b64 v12, v[42:43], v[10:11] offset0:24 offset1:228
	s_mov_b32 s16, 0xbf4f1bbd
	s_mov_b32 s17, s3
	v_pk_mul_f32 v[10:11], v[44:45], s[8:9] op_sel_hi:[0,1]
	v_mov_b32_e32 v25, v61
	v_pk_fma_f32 v[10:11], v[20:21], s[16:17], v[10:11] op_sel_hi:[0,1,1] neg_lo:[0,0,1] neg_hi:[0,0,1]
	v_pk_fma_f32 v[12:13], v[66:67], s[2:3], v[24:25] op_sel_hi:[1,0,1]
	v_pk_add_f32 v[14:15], v[14:15], v[16:17] neg_lo:[0,1] neg_hi:[0,1]
	v_pk_add_f32 v[18:19], v[12:13], v[10:11]
	ds_write2_b64 v34, v[18:19], v[14:15] offset0:48 offset1:252
	v_pk_add_f32 v[14:15], v[64:65], v[68:69] neg_lo:[0,1] neg_hi:[0,1]
	v_pk_add_f32 v[16:17], v[26:27], v[22:23] neg_lo:[0,1] neg_hi:[0,1]
	;; [unrolled: 1-line block ×4, first 2 shown]
	ds_write2_b64 v35, v[14:15], v[16:17] offset0:8 offset1:212
	ds_write2_b64 v40, v[0:1], v[8:9] offset0:32 offset1:236
	s_and_saveexec_b64 s[18:19], vcc
	s_cbranch_execz .LBB0_23
; %bb.22:
	v_subrev_u32_e32 v0, 34, v36
	v_cndmask_b32_e32 v0, v0, v82, vcc
	v_mul_i32_i24_e32 v0, 9, v0
	v_mov_b32_e32 v1, 0
	v_lshl_add_u64 v[0:1], v[0:1], 3, s[4:5]
	global_load_dwordx4 v[8:11], v[0:1], off offset:1496
	global_load_dwordx4 v[12:15], v[0:1], off offset:1512
	;; [unrolled: 1-line block ×4, first 2 shown]
	global_load_dwordx2 v[24:25], v[0:1], off offset:1560
	v_accvgpr_read_b32 v59, a3
	v_accvgpr_read_b32 v61, a5
	v_mov_b32_e32 v0, v30
	v_mov_b32_e32 v26, v7
	;; [unrolled: 1-line block ×4, first 2 shown]
	v_accvgpr_read_b32 v58, a2
	v_accvgpr_read_b32 v60, a4
	v_mov_b32_e32 v40, v31
	v_mov_b32_e32 v1, v29
	s_mov_b32 s4, s7
	s_mov_b32 s20, s3
	s_waitcnt vmcnt(4)
	v_pk_mul_f32 v[42:43], v[48:49], v[10:11] op_sel:[1,0]
	s_waitcnt vmcnt(3)
	v_pk_mul_f32 v[44:45], v[58:59], v[14:15] op_sel:[1,0]
	s_waitcnt vmcnt(2)
	v_pk_mul_f32 v[26:27], v[26:27], v[18:19] op_sel_hi:[0,1]
	s_waitcnt vmcnt(1)
	v_pk_mul_f32 v[50:51], v[2:3], v[22:23] op_sel:[1,0]
	v_pk_mul_f32 v[52:53], v[60:61], v[12:13] op_sel:[1,0]
	;; [unrolled: 1-line block ×3, first 2 shown]
	s_waitcnt vmcnt(0)
	v_pk_mul_f32 v[30:31], v[30:31], v[24:25] op_sel_hi:[0,1]
	v_pk_mul_f32 v[34:35], v[34:35], v[16:17] op_sel_hi:[0,1]
	v_pk_fma_f32 v[56:57], v[48:49], v[10:11], v[42:43] op_sel:[0,0,1] op_sel_hi:[1,1,0]
	v_pk_fma_f32 v[10:11], v[48:49], v[10:11], v[42:43] op_sel:[0,0,1] op_sel_hi:[0,1,0] neg_lo:[1,0,0] neg_hi:[1,0,0]
	v_pk_fma_f32 v[42:43], v[58:59], v[14:15], v[44:45] op_sel:[0,0,1] op_sel_hi:[1,1,0]
	v_pk_fma_f32 v[14:15], v[58:59], v[14:15], v[44:45] op_sel:[0,0,1] op_sel_hi:[0,1,0] neg_lo:[1,0,0] neg_hi:[1,0,0]
	;; [unrolled: 2-line block ×8, first 2 shown]
	v_pk_mul_f32 v[40:41], v[40:41], v[8:9] op_sel_hi:[0,1]
	v_mov_b32_e32 v45, v7
	v_mov_b32_e32 v19, v3
	;; [unrolled: 1-line block ×10, first 2 shown]
	v_pk_fma_f32 v[16:17], v[28:29], v[8:9], v[40:41] op_sel:[0,0,1] op_sel_hi:[0,1,0]
	v_pk_fma_f32 v[8:9], v[28:29], v[8:9], v[40:41] op_sel:[0,0,1] op_sel_hi:[0,1,0] neg_lo:[1,0,0] neg_hi:[1,0,0]
	v_mov_b32_e32 v57, v11
	v_mov_b32_e32 v24, v13
	v_pk_add_f32 v[10:11], v[2:3], v[6:7] neg_lo:[0,1] neg_hi:[0,1]
	v_pk_add_f32 v[12:13], v[26:27], v[30:31]
	v_pk_add_f32 v[2:3], v[6:7], v[2:3] neg_lo:[0,1] neg_hi:[0,1]
	v_pk_add_f32 v[6:7], v[22:23], v[48:49]
	v_mov_b32_e32 v17, v9
	v_mov_b32_e32 v4, v21
	;; [unrolled: 1-line block ×3, first 2 shown]
	v_fma_f32 v33, -0.5, v13, v9
	v_fmac_f32_e32 v9, -0.5, v7
	v_mov_b32_e32 v32, v16
	v_pk_add_f32 v[20:21], v[26:27], v[30:31] neg_lo:[0,1] neg_hi:[0,1]
	v_pk_add_f32 v[28:29], v[24:25], v[4:5] neg_lo:[0,1] neg_hi:[0,1]
	v_pk_add_f32 v[4:5], v[4:5], v[24:25] neg_lo:[0,1] neg_hi:[0,1]
	v_fma_f32 v25, -0.5, v12, v16
	v_mov_b32_e32 v24, v3
	v_pk_add_f32 v[10:11], v[10:11], v[8:9]
	v_mov_b32_e32 v43, v15
	v_pk_add_f32 v[14:15], v[22:23], v[48:49] neg_lo:[0,1] neg_hi:[0,1]
	v_mov_b32_e32 v12, v29
	v_fmac_f32_e32 v32, -0.5, v6
	v_mov_b32_e32 v6, v5
	v_pk_add_f32 v[2:3], v[2:3], v[24:25]
	v_mov_b32_e32 v11, v21
	v_fmamk_f32 v8, v15, 0x3f737871, v25
	v_pk_add_f32 v[12:13], v[28:29], v[12:13]
	v_pk_add_f32 v[4:5], v[4:5], v[6:7]
	v_mov_b32_e32 v3, v15
	v_pk_mul_f32 v[6:7], v[10:11], s[2:3]
	v_fmamk_f32 v24, v21, 0xbf737871, v32
	v_mov_b32_e32 v13, v20
	v_pk_mul_f32 v[2:3], v[2:3], s[2:3]
	v_add_f32_e32 v5, v7, v8
	v_pk_mul_f32 v[10:11], v[12:13], s[2:3]
	v_add_f32_e32 v13, v3, v24
	v_add_f32_e32 v8, v6, v5
	v_mov_b32_e32 v5, v14
	v_fmac_f32_e32 v32, 0x3f737871, v21
	v_add_f32_e32 v24, v2, v13
	v_fmamk_f32 v13, v20, 0x3f737871, v9
	v_pk_mul_f32 v[4:5], v[4:5], s[2:3]
	v_sub_f32_e32 v3, v32, v3
	v_fmac_f32_e32 v9, 0xbf737871, v20
	v_pk_add_f32 v[16:17], v[16:17], v[22:23]
	v_fmamk_f32 v28, v14, 0xbf737871, v33
	v_sub_f32_e32 v13, v13, v5
	v_add_f32_e32 v2, v2, v3
	v_add_f32_e32 v3, v5, v9
	v_fmac_f32_e32 v25, 0xbf737871, v15
	v_pk_add_f32 v[16:17], v[16:17], v[26:27]
	v_sub_f32_e32 v12, v28, v11
	v_add_f32_e32 v28, v4, v13
	v_add_f32_e32 v4, v4, v3
	v_sub_f32_e32 v3, v25, v7
	v_fmac_f32_e32 v33, 0x3f737871, v14
	v_pk_add_f32 v[16:17], v[16:17], v[30:31]
	v_pk_add_f32 v[22:23], v[42:43], v[18:19]
	v_pk_add_f32 v[26:27], v[56:57], v[44:45] neg_lo:[0,1] neg_hi:[0,1]
	v_add_f32_e32 v6, v6, v3
	v_add_f32_e32 v3, v11, v33
	v_pk_add_f32 v[16:17], v[16:17], v[48:49]
	v_pk_fma_f32 v[22:23], v[22:23], 0.5, v[0:1] op_sel_hi:[1,0,1] neg_lo:[1,0,0] neg_hi:[1,0,0]
	v_pk_mul_f32 v[30:31], v[26:27], s[4:5] op_sel_hi:[1,0]
	v_pk_add_f32 v[32:33], v[42:43], v[18:19] neg_lo:[0,1] neg_hi:[0,1]
	v_pk_add_f32 v[40:41], v[56:57], v[42:43] neg_lo:[0,1] neg_hi:[0,1]
	;; [unrolled: 1-line block ×3, first 2 shown]
	v_add_f32_e32 v12, v10, v12
	v_add_f32_e32 v10, v10, v3
	v_pk_add_f32 v[14:15], v[0:1], v[56:57]
	v_pk_mul_f32 v[34:35], v[32:33], s[20:21] op_sel_hi:[1,0]
	v_pk_add_f32 v[40:41], v[40:41], v[48:49]
	v_pk_add_f32 v[48:49], v[22:23], v[30:31] op_sel:[0,1] op_sel_hi:[1,0] neg_lo:[0,1] neg_hi:[0,1]
	v_pk_add_f32 v[22:23], v[22:23], v[30:31] op_sel:[0,1] op_sel_hi:[1,0]
	v_pk_add_f32 v[14:15], v[14:15], v[42:43]
	v_pk_add_f32 v[22:23], v[22:23], v[34:35] op_sel:[0,1] op_sel_hi:[1,0]
	v_pk_add_f32 v[30:31], v[48:49], v[34:35] op_sel:[0,1] op_sel_hi:[1,0] neg_lo:[0,1] neg_hi:[0,1]
	v_pk_mul_f32 v[10:11], v[10:11], s[8:9] op_sel_hi:[0,1]
	v_pk_add_f32 v[14:15], v[14:15], v[18:19]
	v_mov_b32_e32 v34, v30
	v_mov_b32_e32 v35, v23
	v_pk_fma_f32 v[48:49], v[6:7], s[12:13], v[10:11] neg_lo:[0,0,1] neg_hi:[0,0,1]
	v_pk_fma_f32 v[6:7], v[6:7], s[12:13], v[10:11] op_sel_hi:[0,1,1]
	v_pk_add_f32 v[14:15], v[14:15], v[44:45]
	v_pk_fma_f32 v[34:35], v[40:41], s[2:3], v[34:35] op_sel_hi:[1,0,1]
	v_mov_b32_e32 v49, v7
	v_pk_add_f32 v[20:21], v[14:15], v[16:17]
	v_pk_add_f32 v[6:7], v[34:35], v[48:49]
	v_add_u32_e32 v3, 0x400, v46
	ds_write2_b64 v3, v[20:21], v[6:7] offset0:42 offset1:246
	v_pk_add_f32 v[6:7], v[42:43], v[56:57] neg_lo:[0,1] neg_hi:[0,1]
	v_pk_add_f32 v[10:11], v[18:19], v[44:45] neg_lo:[0,1] neg_hi:[0,1]
	v_pk_mul_f32 v[4:5], v[4:5], s[10:11] op_sel_hi:[0,1]
	v_pk_add_f32 v[6:7], v[6:7], v[10:11]
	v_pk_add_f32 v[10:11], v[56:57], v[44:45]
	v_pk_mul_f32 v[20:21], v[28:29], s[10:11] op_sel_hi:[0,1]
	v_pk_fma_f32 v[0:1], v[10:11], 0.5, v[0:1] op_sel_hi:[1,0,1] neg_lo:[1,0,0] neg_hi:[1,0,0]
	v_pk_fma_f32 v[10:11], v[2:3], s[6:7], v[4:5] neg_lo:[0,0,1] neg_hi:[0,0,1]
	v_pk_fma_f32 v[2:3], v[2:3], s[6:7], v[4:5] op_sel_hi:[0,1,1]
	v_mov_b32_e32 v11, v3
	v_pk_mul_f32 v[2:3], v[32:33], s[4:5] op_sel_hi:[1,0]
	v_pk_mul_f32 v[4:5], v[26:27], s[20:21] op_sel_hi:[1,0]
	v_pk_add_f32 v[18:19], v[0:1], v[2:3] op_sel:[0,1] op_sel_hi:[1,0]
	v_pk_add_f32 v[0:1], v[0:1], v[2:3] op_sel:[0,1] op_sel_hi:[1,0] neg_lo:[0,1] neg_hi:[0,1]
	v_pk_add_f32 v[2:3], v[18:19], v[4:5] op_sel:[0,1] op_sel_hi:[1,0] neg_lo:[0,1] neg_hi:[0,1]
	v_pk_add_f32 v[0:1], v[0:1], v[4:5] op_sel:[0,1] op_sel_hi:[1,0]
	v_mov_b32_e32 v4, v2
	v_mov_b32_e32 v5, v1
	;; [unrolled: 1-line block ×3, first 2 shown]
	v_pk_fma_f32 v[4:5], v[6:7], s[2:3], v[4:5] op_sel_hi:[1,0,1]
	v_pk_fma_f32 v[20:21], v[24:25], s[14:15], v[20:21] op_sel_hi:[0,1,1] neg_lo:[0,0,1] neg_hi:[0,0,1]
	v_pk_fma_f32 v[0:1], v[6:7], s[2:3], v[0:1] op_sel_hi:[1,0,1]
	v_pk_add_f32 v[18:19], v[4:5], v[10:11]
	v_pk_add_f32 v[2:3], v[0:1], v[20:21]
	v_add_u32_e32 v6, 0x1200, v46
	ds_write2_b64 v6, v[18:19], v[2:3] offset0:2 offset1:206
	v_pk_mul_f32 v[2:3], v[12:13], s[8:9] op_sel_hi:[0,1]
	v_mov_b32_e32 v23, v31
	v_pk_fma_f32 v[2:3], v[8:9], s[16:17], v[2:3] op_sel_hi:[0,1,1] neg_lo:[0,0,1] neg_hi:[0,0,1]
	v_pk_fma_f32 v[6:7], v[40:41], s[2:3], v[22:23] op_sel_hi:[1,0,1]
	v_pk_add_f32 v[12:13], v[14:15], v[16:17] neg_lo:[0,1] neg_hi:[0,1]
	v_pk_add_f32 v[8:9], v[6:7], v[2:3]
	v_add_u32_e32 v14, 0x1e00, v46
	ds_write2_b64 v14, v[8:9], v[12:13] offset0:26 offset1:230
	v_pk_add_f32 v[8:9], v[34:35], v[48:49] neg_lo:[0,1] neg_hi:[0,1]
	v_pk_add_f32 v[4:5], v[4:5], v[10:11] neg_lo:[0,1] neg_hi:[0,1]
	v_add_u32_e32 v10, 0x2a00, v46
	ds_write2_b64 v10, v[8:9], v[4:5] offset0:50 offset1:254
	v_pk_add_f32 v[0:1], v[0:1], v[20:21] neg_lo:[0,1] neg_hi:[0,1]
	v_pk_add_f32 v[2:3], v[6:7], v[2:3] neg_lo:[0,1] neg_hi:[0,1]
	v_add_u32_e32 v4, 0x3800, v46
	ds_write2_b64 v4, v[0:1], v[2:3] offset0:10 offset1:214
.LBB0_23:
	s_or_b64 exec, exec, s[18:19]
	s_waitcnt lgkmcnt(0)
	s_barrier
	s_and_saveexec_b64 s[2:3], s[0:1]
	s_cbranch_execz .LBB0_25
; %bb.24:
	v_lshl_add_u32 v8, v36, 3, 0
	ds_read2_b64 v[0:3], v8 offset1:170
	v_mov_b32_e32 v37, 0
	v_add_u32_e32 v4, 0xaa, v36
	v_lshl_add_u64 v[6:7], v[36:37], 3, v[38:39]
	v_mov_b32_e32 v5, v37
	s_waitcnt lgkmcnt(0)
	global_store_dwordx2 v[6:7], v[0:1], off
	v_lshl_add_u64 v[0:1], v[4:5], 3, v[38:39]
	v_add_u32_e32 v4, 0x800, v8
	ds_read2_b64 v[4:7], v4 offset0:84 offset1:254
	global_store_dwordx2 v[0:1], v[2:3], off
	v_add_u32_e32 v0, 0x154, v36
	v_mov_b32_e32 v1, v37
	v_lshl_add_u64 v[0:1], v[0:1], 3, v[38:39]
	s_waitcnt lgkmcnt(0)
	global_store_dwordx2 v[0:1], v[4:5], off
	v_add_u32_e32 v0, 0x1fe, v36
	v_mov_b32_e32 v1, v37
	v_lshl_add_u64 v[4:5], v[0:1], 3, v[38:39]
	v_add_u32_e32 v0, 0x1400, v8
	ds_read2_b64 v[0:3], v0 offset0:40 offset1:210
	global_store_dwordx2 v[4:5], v[6:7], off
	v_add_u32_e32 v4, 0x2a8, v36
	v_mov_b32_e32 v5, v37
	v_lshl_add_u64 v[4:5], v[4:5], 3, v[38:39]
	s_waitcnt lgkmcnt(0)
	global_store_dwordx2 v[4:5], v[0:1], off
	v_add_u32_e32 v4, 0x1e00, v8
	ds_read2_b64 v[4:7], v4 offset0:60 offset1:230
	v_add_u32_e32 v0, 0x352, v36
	v_mov_b32_e32 v1, v37
	v_lshl_add_u64 v[0:1], v[0:1], 3, v[38:39]
	global_store_dwordx2 v[0:1], v[2:3], off
	v_add_u32_e32 v0, 0x3fc, v36
	v_mov_b32_e32 v1, v37
	v_lshl_add_u64 v[0:1], v[0:1], 3, v[38:39]
	s_waitcnt lgkmcnt(0)
	global_store_dwordx2 v[0:1], v[4:5], off
	v_add_u32_e32 v0, 0x4a6, v36
	v_mov_b32_e32 v1, v37
	v_lshl_add_u64 v[4:5], v[0:1], 3, v[38:39]
	v_add_u32_e32 v0, 0x2800, v8
	ds_read2_b64 v[0:3], v0 offset0:80 offset1:250
	global_store_dwordx2 v[4:5], v[6:7], off
	v_add_u32_e32 v4, 0x550, v36
	v_mov_b32_e32 v5, v37
	v_lshl_add_u64 v[4:5], v[4:5], 3, v[38:39]
	s_waitcnt lgkmcnt(0)
	global_store_dwordx2 v[4:5], v[0:1], off
	v_add_u32_e32 v4, 0x3400, v8
	ds_read2_b64 v[4:7], v4 offset0:36 offset1:206
	v_add_u32_e32 v0, 0x5fa, v36
	v_mov_b32_e32 v1, v37
	v_lshl_add_u64 v[0:1], v[0:1], 3, v[38:39]
	global_store_dwordx2 v[0:1], v[2:3], off
	v_add_u32_e32 v0, 0x6a4, v36
	v_mov_b32_e32 v1, v37
	v_lshl_add_u64 v[0:1], v[0:1], 3, v[38:39]
	v_add_u32_e32 v36, 0x74e, v36
	s_waitcnt lgkmcnt(0)
	global_store_dwordx2 v[0:1], v[4:5], off
	v_lshl_add_u64 v[0:1], v[36:37], 3, v[38:39]
	global_store_dwordx2 v[0:1], v[6:7], off
.LBB0_25:
	s_endpgm
	.section	.rodata,"a",@progbits
	.p2align	6, 0x0
	.amdhsa_kernel fft_rtc_back_len2040_factors_17_4_3_10_wgs_170_tpt_170_halfLds_sp_ip_CI_unitstride_sbrr_C2R_dirReg
		.amdhsa_group_segment_fixed_size 0
		.amdhsa_private_segment_fixed_size 0
		.amdhsa_kernarg_size 88
		.amdhsa_user_sgpr_count 2
		.amdhsa_user_sgpr_dispatch_ptr 0
		.amdhsa_user_sgpr_queue_ptr 0
		.amdhsa_user_sgpr_kernarg_segment_ptr 1
		.amdhsa_user_sgpr_dispatch_id 0
		.amdhsa_user_sgpr_kernarg_preload_length 0
		.amdhsa_user_sgpr_kernarg_preload_offset 0
		.amdhsa_user_sgpr_private_segment_size 0
		.amdhsa_uses_dynamic_stack 0
		.amdhsa_enable_private_segment 0
		.amdhsa_system_sgpr_workgroup_id_x 1
		.amdhsa_system_sgpr_workgroup_id_y 0
		.amdhsa_system_sgpr_workgroup_id_z 0
		.amdhsa_system_sgpr_workgroup_info 0
		.amdhsa_system_vgpr_workitem_id 0
		.amdhsa_next_free_vgpr 264
		.amdhsa_next_free_sgpr 56
		.amdhsa_accum_offset 256
		.amdhsa_reserve_vcc 1
		.amdhsa_float_round_mode_32 0
		.amdhsa_float_round_mode_16_64 0
		.amdhsa_float_denorm_mode_32 3
		.amdhsa_float_denorm_mode_16_64 3
		.amdhsa_dx10_clamp 1
		.amdhsa_ieee_mode 1
		.amdhsa_fp16_overflow 0
		.amdhsa_tg_split 0
		.amdhsa_exception_fp_ieee_invalid_op 0
		.amdhsa_exception_fp_denorm_src 0
		.amdhsa_exception_fp_ieee_div_zero 0
		.amdhsa_exception_fp_ieee_overflow 0
		.amdhsa_exception_fp_ieee_underflow 0
		.amdhsa_exception_fp_ieee_inexact 0
		.amdhsa_exception_int_div_zero 0
	.end_amdhsa_kernel
	.text
.Lfunc_end0:
	.size	fft_rtc_back_len2040_factors_17_4_3_10_wgs_170_tpt_170_halfLds_sp_ip_CI_unitstride_sbrr_C2R_dirReg, .Lfunc_end0-fft_rtc_back_len2040_factors_17_4_3_10_wgs_170_tpt_170_halfLds_sp_ip_CI_unitstride_sbrr_C2R_dirReg
                                        ; -- End function
	.section	.AMDGPU.csdata,"",@progbits
; Kernel info:
; codeLenInByte = 12744
; NumSgprs: 62
; NumVgprs: 256
; NumAgprs: 8
; TotalNumVgprs: 264
; ScratchSize: 0
; MemoryBound: 0
; FloatMode: 240
; IeeeMode: 1
; LDSByteSize: 0 bytes/workgroup (compile time only)
; SGPRBlocks: 7
; VGPRBlocks: 32
; NumSGPRsForWavesPerEU: 62
; NumVGPRsForWavesPerEU: 264
; AccumOffset: 256
; Occupancy: 1
; WaveLimiterHint : 1
; COMPUTE_PGM_RSRC2:SCRATCH_EN: 0
; COMPUTE_PGM_RSRC2:USER_SGPR: 2
; COMPUTE_PGM_RSRC2:TRAP_HANDLER: 0
; COMPUTE_PGM_RSRC2:TGID_X_EN: 1
; COMPUTE_PGM_RSRC2:TGID_Y_EN: 0
; COMPUTE_PGM_RSRC2:TGID_Z_EN: 0
; COMPUTE_PGM_RSRC2:TIDIG_COMP_CNT: 0
; COMPUTE_PGM_RSRC3_GFX90A:ACCUM_OFFSET: 63
; COMPUTE_PGM_RSRC3_GFX90A:TG_SPLIT: 0
	.text
	.p2alignl 6, 3212836864
	.fill 256, 4, 3212836864
	.type	__hip_cuid_e342992b6ca77461,@object ; @__hip_cuid_e342992b6ca77461
	.section	.bss,"aw",@nobits
	.globl	__hip_cuid_e342992b6ca77461
__hip_cuid_e342992b6ca77461:
	.byte	0                               ; 0x0
	.size	__hip_cuid_e342992b6ca77461, 1

	.ident	"AMD clang version 19.0.0git (https://github.com/RadeonOpenCompute/llvm-project roc-6.4.0 25133 c7fe45cf4b819c5991fe208aaa96edf142730f1d)"
	.section	".note.GNU-stack","",@progbits
	.addrsig
	.addrsig_sym __hip_cuid_e342992b6ca77461
	.amdgpu_metadata
---
amdhsa.kernels:
  - .agpr_count:     8
    .args:
      - .actual_access:  read_only
        .address_space:  global
        .offset:         0
        .size:           8
        .value_kind:     global_buffer
      - .offset:         8
        .size:           8
        .value_kind:     by_value
      - .actual_access:  read_only
        .address_space:  global
        .offset:         16
        .size:           8
        .value_kind:     global_buffer
      - .actual_access:  read_only
        .address_space:  global
        .offset:         24
        .size:           8
        .value_kind:     global_buffer
      - .offset:         32
        .size:           8
        .value_kind:     by_value
      - .actual_access:  read_only
        .address_space:  global
        .offset:         40
        .size:           8
        .value_kind:     global_buffer
      - .actual_access:  read_only
        .address_space:  global
        .offset:         48
        .size:           8
        .value_kind:     global_buffer
      - .offset:         56
        .size:           4
        .value_kind:     by_value
      - .actual_access:  read_only
        .address_space:  global
        .offset:         64
        .size:           8
        .value_kind:     global_buffer
      - .actual_access:  read_only
        .address_space:  global
        .offset:         72
        .size:           8
        .value_kind:     global_buffer
      - .address_space:  global
        .offset:         80
        .size:           8
        .value_kind:     global_buffer
    .group_segment_fixed_size: 0
    .kernarg_segment_align: 8
    .kernarg_segment_size: 88
    .language:       OpenCL C
    .language_version:
      - 2
      - 0
    .max_flat_workgroup_size: 170
    .name:           fft_rtc_back_len2040_factors_17_4_3_10_wgs_170_tpt_170_halfLds_sp_ip_CI_unitstride_sbrr_C2R_dirReg
    .private_segment_fixed_size: 0
    .sgpr_count:     62
    .sgpr_spill_count: 0
    .symbol:         fft_rtc_back_len2040_factors_17_4_3_10_wgs_170_tpt_170_halfLds_sp_ip_CI_unitstride_sbrr_C2R_dirReg.kd
    .uniform_work_group_size: 1
    .uses_dynamic_stack: false
    .vgpr_count:     264
    .vgpr_spill_count: 0
    .wavefront_size: 64
amdhsa.target:   amdgcn-amd-amdhsa--gfx950
amdhsa.version:
  - 1
  - 2
...

	.end_amdgpu_metadata
